;; amdgpu-corpus repo=ROCm/rocFFT kind=compiled arch=gfx1100 opt=O3
	.text
	.amdgcn_target "amdgcn-amd-amdhsa--gfx1100"
	.amdhsa_code_object_version 6
	.protected	fft_rtc_fwd_len850_factors_10_5_17_wgs_85_tpt_85_dp_op_CI_CI_unitstride_sbrr_dirReg ; -- Begin function fft_rtc_fwd_len850_factors_10_5_17_wgs_85_tpt_85_dp_op_CI_CI_unitstride_sbrr_dirReg
	.globl	fft_rtc_fwd_len850_factors_10_5_17_wgs_85_tpt_85_dp_op_CI_CI_unitstride_sbrr_dirReg
	.p2align	8
	.type	fft_rtc_fwd_len850_factors_10_5_17_wgs_85_tpt_85_dp_op_CI_CI_unitstride_sbrr_dirReg,@function
fft_rtc_fwd_len850_factors_10_5_17_wgs_85_tpt_85_dp_op_CI_CI_unitstride_sbrr_dirReg: ; @fft_rtc_fwd_len850_factors_10_5_17_wgs_85_tpt_85_dp_op_CI_CI_unitstride_sbrr_dirReg
; %bb.0:
	s_clause 0x2
	s_load_b128 s[8:11], s[0:1], 0x0
	s_load_b128 s[4:7], s[0:1], 0x58
	;; [unrolled: 1-line block ×3, first 2 shown]
	v_mul_u32_u24_e32 v1, 0x304, v0
	v_mov_b32_e32 v4, 0
	v_mov_b32_e32 v5, 0
	s_delay_alu instid0(VALU_DEP_3) | instskip(NEXT) | instid1(VALU_DEP_1)
	v_lshrrev_b32_e32 v2, 16, v1
	v_dual_mov_b32 v1, 0 :: v_dual_add_nc_u32 v6, s15, v2
	s_delay_alu instid0(VALU_DEP_1) | instskip(SKIP_2) | instid1(VALU_DEP_1)
	v_mov_b32_e32 v7, v1
	s_waitcnt lgkmcnt(0)
	v_cmp_lt_u64_e64 s2, s[10:11], 2
	s_and_b32 vcc_lo, exec_lo, s2
	s_cbranch_vccnz .LBB0_8
; %bb.1:
	s_load_b64 s[2:3], s[0:1], 0x10
	v_mov_b32_e32 v4, 0
	v_mov_b32_e32 v5, 0
	s_add_u32 s12, s18, 8
	s_addc_u32 s13, s19, 0
	s_add_u32 s14, s16, 8
	s_addc_u32 s15, s17, 0
	v_dual_mov_b32 v69, v5 :: v_dual_mov_b32 v68, v4
	s_mov_b64 s[22:23], 1
	s_waitcnt lgkmcnt(0)
	s_add_u32 s20, s2, 8
	s_addc_u32 s21, s3, 0
.LBB0_2:                                ; =>This Inner Loop Header: Depth=1
	s_load_b64 s[24:25], s[20:21], 0x0
                                        ; implicit-def: $vgpr70_vgpr71
	s_mov_b32 s2, exec_lo
	s_waitcnt lgkmcnt(0)
	v_or_b32_e32 v2, s25, v7
	s_delay_alu instid0(VALU_DEP_1)
	v_cmpx_ne_u64_e32 0, v[1:2]
	s_xor_b32 s3, exec_lo, s2
	s_cbranch_execz .LBB0_4
; %bb.3:                                ;   in Loop: Header=BB0_2 Depth=1
	v_cvt_f32_u32_e32 v2, s24
	v_cvt_f32_u32_e32 v3, s25
	s_sub_u32 s2, 0, s24
	s_subb_u32 s26, 0, s25
	s_delay_alu instid0(VALU_DEP_1) | instskip(NEXT) | instid1(VALU_DEP_1)
	v_fmac_f32_e32 v2, 0x4f800000, v3
	v_rcp_f32_e32 v2, v2
	s_waitcnt_depctr 0xfff
	v_mul_f32_e32 v2, 0x5f7ffffc, v2
	s_delay_alu instid0(VALU_DEP_1) | instskip(NEXT) | instid1(VALU_DEP_1)
	v_mul_f32_e32 v3, 0x2f800000, v2
	v_trunc_f32_e32 v3, v3
	s_delay_alu instid0(VALU_DEP_1) | instskip(SKIP_1) | instid1(VALU_DEP_2)
	v_fmac_f32_e32 v2, 0xcf800000, v3
	v_cvt_u32_f32_e32 v3, v3
	v_cvt_u32_f32_e32 v2, v2
	s_delay_alu instid0(VALU_DEP_2) | instskip(NEXT) | instid1(VALU_DEP_2)
	v_mul_lo_u32 v8, s2, v3
	v_mul_hi_u32 v9, s2, v2
	v_mul_lo_u32 v10, s26, v2
	s_delay_alu instid0(VALU_DEP_2) | instskip(SKIP_1) | instid1(VALU_DEP_2)
	v_add_nc_u32_e32 v8, v9, v8
	v_mul_lo_u32 v9, s2, v2
	v_add_nc_u32_e32 v8, v8, v10
	s_delay_alu instid0(VALU_DEP_2) | instskip(NEXT) | instid1(VALU_DEP_2)
	v_mul_hi_u32 v10, v2, v9
	v_mul_lo_u32 v11, v2, v8
	v_mul_hi_u32 v12, v2, v8
	v_mul_hi_u32 v13, v3, v9
	v_mul_lo_u32 v9, v3, v9
	v_mul_hi_u32 v14, v3, v8
	v_mul_lo_u32 v8, v3, v8
	v_add_co_u32 v10, vcc_lo, v10, v11
	v_add_co_ci_u32_e32 v11, vcc_lo, 0, v12, vcc_lo
	s_delay_alu instid0(VALU_DEP_2) | instskip(NEXT) | instid1(VALU_DEP_2)
	v_add_co_u32 v9, vcc_lo, v10, v9
	v_add_co_ci_u32_e32 v9, vcc_lo, v11, v13, vcc_lo
	v_add_co_ci_u32_e32 v10, vcc_lo, 0, v14, vcc_lo
	s_delay_alu instid0(VALU_DEP_2) | instskip(NEXT) | instid1(VALU_DEP_2)
	v_add_co_u32 v8, vcc_lo, v9, v8
	v_add_co_ci_u32_e32 v9, vcc_lo, 0, v10, vcc_lo
	s_delay_alu instid0(VALU_DEP_2) | instskip(NEXT) | instid1(VALU_DEP_2)
	v_add_co_u32 v2, vcc_lo, v2, v8
	v_add_co_ci_u32_e32 v3, vcc_lo, v3, v9, vcc_lo
	s_delay_alu instid0(VALU_DEP_2) | instskip(SKIP_1) | instid1(VALU_DEP_3)
	v_mul_hi_u32 v8, s2, v2
	v_mul_lo_u32 v10, s26, v2
	v_mul_lo_u32 v9, s2, v3
	s_delay_alu instid0(VALU_DEP_1) | instskip(SKIP_1) | instid1(VALU_DEP_2)
	v_add_nc_u32_e32 v8, v8, v9
	v_mul_lo_u32 v9, s2, v2
	v_add_nc_u32_e32 v8, v8, v10
	s_delay_alu instid0(VALU_DEP_2) | instskip(NEXT) | instid1(VALU_DEP_2)
	v_mul_hi_u32 v10, v2, v9
	v_mul_lo_u32 v11, v2, v8
	v_mul_hi_u32 v12, v2, v8
	v_mul_hi_u32 v13, v3, v9
	v_mul_lo_u32 v9, v3, v9
	v_mul_hi_u32 v14, v3, v8
	v_mul_lo_u32 v8, v3, v8
	v_add_co_u32 v10, vcc_lo, v10, v11
	v_add_co_ci_u32_e32 v11, vcc_lo, 0, v12, vcc_lo
	s_delay_alu instid0(VALU_DEP_2) | instskip(NEXT) | instid1(VALU_DEP_2)
	v_add_co_u32 v9, vcc_lo, v10, v9
	v_add_co_ci_u32_e32 v9, vcc_lo, v11, v13, vcc_lo
	v_add_co_ci_u32_e32 v10, vcc_lo, 0, v14, vcc_lo
	s_delay_alu instid0(VALU_DEP_2) | instskip(NEXT) | instid1(VALU_DEP_2)
	v_add_co_u32 v8, vcc_lo, v9, v8
	v_add_co_ci_u32_e32 v9, vcc_lo, 0, v10, vcc_lo
	s_delay_alu instid0(VALU_DEP_2) | instskip(NEXT) | instid1(VALU_DEP_2)
	v_add_co_u32 v10, vcc_lo, v2, v8
	v_add_co_ci_u32_e32 v12, vcc_lo, v3, v9, vcc_lo
	s_delay_alu instid0(VALU_DEP_2) | instskip(SKIP_1) | instid1(VALU_DEP_3)
	v_mul_hi_u32 v13, v6, v10
	v_mad_u64_u32 v[8:9], null, v7, v10, 0
	v_mad_u64_u32 v[2:3], null, v6, v12, 0
	;; [unrolled: 1-line block ×3, first 2 shown]
	s_delay_alu instid0(VALU_DEP_2) | instskip(NEXT) | instid1(VALU_DEP_3)
	v_add_co_u32 v2, vcc_lo, v13, v2
	v_add_co_ci_u32_e32 v3, vcc_lo, 0, v3, vcc_lo
	s_delay_alu instid0(VALU_DEP_2) | instskip(NEXT) | instid1(VALU_DEP_2)
	v_add_co_u32 v2, vcc_lo, v2, v8
	v_add_co_ci_u32_e32 v2, vcc_lo, v3, v9, vcc_lo
	v_add_co_ci_u32_e32 v3, vcc_lo, 0, v11, vcc_lo
	s_delay_alu instid0(VALU_DEP_2) | instskip(NEXT) | instid1(VALU_DEP_2)
	v_add_co_u32 v8, vcc_lo, v2, v10
	v_add_co_ci_u32_e32 v9, vcc_lo, 0, v3, vcc_lo
	s_delay_alu instid0(VALU_DEP_2) | instskip(SKIP_1) | instid1(VALU_DEP_3)
	v_mul_lo_u32 v10, s25, v8
	v_mad_u64_u32 v[2:3], null, s24, v8, 0
	v_mul_lo_u32 v11, s24, v9
	s_delay_alu instid0(VALU_DEP_2) | instskip(NEXT) | instid1(VALU_DEP_2)
	v_sub_co_u32 v2, vcc_lo, v6, v2
	v_add3_u32 v3, v3, v11, v10
	s_delay_alu instid0(VALU_DEP_1) | instskip(NEXT) | instid1(VALU_DEP_1)
	v_sub_nc_u32_e32 v10, v7, v3
	v_subrev_co_ci_u32_e64 v10, s2, s25, v10, vcc_lo
	v_add_co_u32 v11, s2, v8, 2
	s_delay_alu instid0(VALU_DEP_1) | instskip(SKIP_3) | instid1(VALU_DEP_3)
	v_add_co_ci_u32_e64 v12, s2, 0, v9, s2
	v_sub_co_u32 v13, s2, v2, s24
	v_sub_co_ci_u32_e32 v3, vcc_lo, v7, v3, vcc_lo
	v_subrev_co_ci_u32_e64 v10, s2, 0, v10, s2
	v_cmp_le_u32_e32 vcc_lo, s24, v13
	s_delay_alu instid0(VALU_DEP_3) | instskip(SKIP_1) | instid1(VALU_DEP_4)
	v_cmp_eq_u32_e64 s2, s25, v3
	v_cndmask_b32_e64 v13, 0, -1, vcc_lo
	v_cmp_le_u32_e32 vcc_lo, s25, v10
	v_cndmask_b32_e64 v14, 0, -1, vcc_lo
	v_cmp_le_u32_e32 vcc_lo, s24, v2
	;; [unrolled: 2-line block ×3, first 2 shown]
	v_cndmask_b32_e64 v15, 0, -1, vcc_lo
	v_cmp_eq_u32_e32 vcc_lo, s25, v10
	s_delay_alu instid0(VALU_DEP_2) | instskip(SKIP_3) | instid1(VALU_DEP_3)
	v_cndmask_b32_e64 v2, v15, v2, s2
	v_cndmask_b32_e32 v10, v14, v13, vcc_lo
	v_add_co_u32 v13, vcc_lo, v8, 1
	v_add_co_ci_u32_e32 v14, vcc_lo, 0, v9, vcc_lo
	v_cmp_ne_u32_e32 vcc_lo, 0, v10
	s_delay_alu instid0(VALU_DEP_2) | instskip(SKIP_1) | instid1(VALU_DEP_2)
	v_dual_cndmask_b32 v3, v14, v12 :: v_dual_cndmask_b32 v10, v13, v11
	v_cmp_ne_u32_e32 vcc_lo, 0, v2
	v_dual_cndmask_b32 v71, v9, v3 :: v_dual_cndmask_b32 v70, v8, v10
.LBB0_4:                                ;   in Loop: Header=BB0_2 Depth=1
	s_and_not1_saveexec_b32 s2, s3
	s_cbranch_execz .LBB0_6
; %bb.5:                                ;   in Loop: Header=BB0_2 Depth=1
	v_cvt_f32_u32_e32 v2, s24
	s_sub_i32 s3, 0, s24
	v_mov_b32_e32 v71, v1
	s_delay_alu instid0(VALU_DEP_2) | instskip(SKIP_2) | instid1(VALU_DEP_1)
	v_rcp_iflag_f32_e32 v2, v2
	s_waitcnt_depctr 0xfff
	v_mul_f32_e32 v2, 0x4f7ffffe, v2
	v_cvt_u32_f32_e32 v2, v2
	s_delay_alu instid0(VALU_DEP_1) | instskip(NEXT) | instid1(VALU_DEP_1)
	v_mul_lo_u32 v3, s3, v2
	v_mul_hi_u32 v3, v2, v3
	s_delay_alu instid0(VALU_DEP_1) | instskip(NEXT) | instid1(VALU_DEP_1)
	v_add_nc_u32_e32 v2, v2, v3
	v_mul_hi_u32 v2, v6, v2
	s_delay_alu instid0(VALU_DEP_1) | instskip(SKIP_1) | instid1(VALU_DEP_2)
	v_mul_lo_u32 v3, v2, s24
	v_add_nc_u32_e32 v8, 1, v2
	v_sub_nc_u32_e32 v3, v6, v3
	s_delay_alu instid0(VALU_DEP_1) | instskip(SKIP_1) | instid1(VALU_DEP_2)
	v_subrev_nc_u32_e32 v9, s24, v3
	v_cmp_le_u32_e32 vcc_lo, s24, v3
	v_dual_cndmask_b32 v3, v3, v9 :: v_dual_cndmask_b32 v2, v2, v8
	s_delay_alu instid0(VALU_DEP_1) | instskip(NEXT) | instid1(VALU_DEP_2)
	v_cmp_le_u32_e32 vcc_lo, s24, v3
	v_add_nc_u32_e32 v8, 1, v2
	s_delay_alu instid0(VALU_DEP_1)
	v_cndmask_b32_e32 v70, v2, v8, vcc_lo
.LBB0_6:                                ;   in Loop: Header=BB0_2 Depth=1
	s_or_b32 exec_lo, exec_lo, s2
	s_delay_alu instid0(VALU_DEP_1) | instskip(NEXT) | instid1(VALU_DEP_2)
	v_mul_lo_u32 v8, v71, s24
	v_mul_lo_u32 v9, v70, s25
	s_load_b64 s[2:3], s[14:15], 0x0
	v_mad_u64_u32 v[2:3], null, v70, s24, 0
	s_load_b64 s[24:25], s[12:13], 0x0
	s_add_u32 s22, s22, 1
	s_addc_u32 s23, s23, 0
	s_add_u32 s12, s12, 8
	s_addc_u32 s13, s13, 0
	s_add_u32 s14, s14, 8
	s_delay_alu instid0(VALU_DEP_1) | instskip(SKIP_3) | instid1(VALU_DEP_2)
	v_add3_u32 v3, v3, v9, v8
	v_sub_co_u32 v8, vcc_lo, v6, v2
	s_addc_u32 s15, s15, 0
	s_add_u32 s20, s20, 8
	v_sub_co_ci_u32_e32 v6, vcc_lo, v7, v3, vcc_lo
	s_addc_u32 s21, s21, 0
	s_waitcnt lgkmcnt(0)
	s_delay_alu instid0(VALU_DEP_1)
	v_mul_lo_u32 v9, s2, v6
	v_mul_lo_u32 v10, s3, v8
	v_mad_u64_u32 v[2:3], null, s2, v8, v[4:5]
	v_mul_lo_u32 v11, s24, v6
	v_mul_lo_u32 v12, s25, v8
	v_mad_u64_u32 v[6:7], null, s24, v8, v[68:69]
	v_cmp_ge_u64_e64 s2, s[22:23], s[10:11]
	v_add3_u32 v5, v10, v3, v9
	v_mov_b32_e32 v4, v2
	s_delay_alu instid0(VALU_DEP_4)
	v_add3_u32 v69, v12, v7, v11
	v_mov_b32_e32 v68, v6
	s_and_b32 vcc_lo, exec_lo, s2
	s_cbranch_vccnz .LBB0_9
; %bb.7:                                ;   in Loop: Header=BB0_2 Depth=1
	v_dual_mov_b32 v6, v70 :: v_dual_mov_b32 v7, v71
	s_branch .LBB0_2
.LBB0_8:
	v_dual_mov_b32 v69, v5 :: v_dual_mov_b32 v68, v4
	v_dual_mov_b32 v71, v7 :: v_dual_mov_b32 v70, v6
.LBB0_9:
	s_load_b64 s[0:1], s[0:1], 0x28
	v_mul_hi_u32 v1, 0x3030304, v0
	s_lshl_b64 s[10:11], s[10:11], 3
                                        ; implicit-def: $vgpr113
	s_delay_alu instid0(SALU_CYCLE_1) | instskip(SKIP_4) | instid1(VALU_DEP_1)
	s_add_u32 s2, s18, s10
	s_addc_u32 s3, s19, s11
	s_waitcnt lgkmcnt(0)
	v_cmp_gt_u64_e32 vcc_lo, s[0:1], v[70:71]
	v_cmp_le_u64_e64 s0, s[0:1], v[70:71]
	s_and_saveexec_b32 s1, s0
	s_delay_alu instid0(SALU_CYCLE_1)
	s_xor_b32 s0, exec_lo, s1
; %bb.10:
	v_mul_u32_u24_e32 v1, 0x55, v1
                                        ; implicit-def: $vgpr4_vgpr5
	s_delay_alu instid0(VALU_DEP_1)
	v_sub_nc_u32_e32 v113, v0, v1
                                        ; implicit-def: $vgpr1
                                        ; implicit-def: $vgpr0
; %bb.11:
	s_or_saveexec_b32 s1, s0
                                        ; implicit-def: $vgpr6_vgpr7
                                        ; implicit-def: $vgpr2_vgpr3
                                        ; implicit-def: $vgpr18_vgpr19
                                        ; implicit-def: $vgpr14_vgpr15
                                        ; implicit-def: $vgpr26_vgpr27
                                        ; implicit-def: $vgpr30_vgpr31
                                        ; implicit-def: $vgpr38_vgpr39
                                        ; implicit-def: $vgpr34_vgpr35
                                        ; implicit-def: $vgpr22_vgpr23
                                        ; implicit-def: $vgpr10_vgpr11
	s_delay_alu instid0(SALU_CYCLE_1)
	s_xor_b32 exec_lo, exec_lo, s1
	s_cbranch_execz .LBB0_13
; %bb.12:
	s_add_u32 s10, s16, s10
	s_addc_u32 s11, s17, s11
	s_load_b64 s[10:11], s[10:11], 0x0
	s_waitcnt lgkmcnt(0)
	v_mul_lo_u32 v6, s11, v70
	v_mul_lo_u32 v7, s10, v71
	v_mad_u64_u32 v[2:3], null, s10, v70, 0
	s_delay_alu instid0(VALU_DEP_1) | instskip(SKIP_1) | instid1(VALU_DEP_2)
	v_add3_u32 v3, v3, v7, v6
	v_mul_u32_u24_e32 v6, 0x55, v1
	v_lshlrev_b64 v[1:2], 4, v[2:3]
	v_lshlrev_b64 v[3:4], 4, v[4:5]
	s_delay_alu instid0(VALU_DEP_3) | instskip(NEXT) | instid1(VALU_DEP_3)
	v_sub_nc_u32_e32 v113, v0, v6
	v_add_co_u32 v0, s0, s4, v1
	s_delay_alu instid0(VALU_DEP_1) | instskip(NEXT) | instid1(VALU_DEP_3)
	v_add_co_ci_u32_e64 v1, s0, s5, v2, s0
	v_lshlrev_b32_e32 v2, 4, v113
	s_delay_alu instid0(VALU_DEP_3) | instskip(NEXT) | instid1(VALU_DEP_1)
	v_add_co_u32 v0, s0, v0, v3
	v_add_co_ci_u32_e64 v1, s0, v1, v4, s0
	s_delay_alu instid0(VALU_DEP_2) | instskip(NEXT) | instid1(VALU_DEP_1)
	v_add_co_u32 v0, s0, v0, v2
	v_add_co_ci_u32_e64 v1, s0, 0, v1, s0
	s_clause 0x1
	global_load_b128 v[8:11], v[0:1], off
	global_load_b128 v[20:23], v[0:1], off offset:1360
	v_add_co_u32 v2, s0, 0x1000, v0
	s_delay_alu instid0(VALU_DEP_1) | instskip(SKIP_1) | instid1(VALU_DEP_1)
	v_add_co_ci_u32_e64 v3, s0, 0, v1, s0
	v_add_co_u32 v4, s0, 0x2000, v0
	v_add_co_ci_u32_e64 v5, s0, 0, v1, s0
	s_clause 0x7
	global_load_b128 v[32:35], v[0:1], off offset:2720
	global_load_b128 v[36:39], v[0:1], off offset:4080
	;; [unrolled: 1-line block ×8, first 2 shown]
.LBB0_13:
	s_or_b32 exec_lo, exec_lo, s1
	s_waitcnt vmcnt(2)
	v_add_f64 v[40:41], v[16:17], v[24:25]
	s_waitcnt vmcnt(0)
	v_add_f64 v[42:43], v[4:5], v[36:37]
	v_add_f64 v[44:45], v[6:7], v[38:39]
	;; [unrolled: 1-line block ×3, first 2 shown]
	v_add_f64 v[48:49], v[38:39], -v[6:7]
	v_add_f64 v[50:51], v[26:27], -v[18:19]
	;; [unrolled: 1-line block ×4, first 2 shown]
	s_mov_b32 s0, 0x134454ff
	s_mov_b32 s1, 0x3fee6f0e
	;; [unrolled: 1-line block ×4, first 2 shown]
	v_add_f64 v[56:57], v[12:13], v[28:29]
	v_add_f64 v[58:59], v[0:1], v[32:33]
	;; [unrolled: 1-line block ×4, first 2 shown]
	v_add_f64 v[64:65], v[36:37], -v[24:25]
	v_add_f64 v[66:67], v[4:5], -v[16:17]
	;; [unrolled: 1-line block ×8, first 2 shown]
	s_mov_b32 s4, 0x4755a5e
	s_mov_b32 s5, 0x3fe2cf23
	;; [unrolled: 1-line block ×4, first 2 shown]
	v_add_f64 v[93:94], v[34:35], v[10:11]
	v_add_f64 v[95:96], v[30:31], -v[14:15]
	v_add_f64 v[97:98], v[32:33], -v[0:1]
	;; [unrolled: 1-line block ×3, first 2 shown]
	s_mov_b32 s14, 0x372fe950
	s_mov_b32 s15, 0x3fd3c6ef
	;; [unrolled: 1-line block ×4, first 2 shown]
	s_load_b64 s[2:3], s[2:3], 0x0
	v_fma_f64 v[40:41], v[40:41], -0.5, v[20:21]
	v_fma_f64 v[42:43], v[42:43], -0.5, v[20:21]
	;; [unrolled: 1-line block ×4, first 2 shown]
	v_add_f64 v[20:21], v[36:37], v[20:21]
	v_add_f64 v[22:23], v[38:39], v[22:23]
	;; [unrolled: 1-line block ×3, first 2 shown]
	v_add_f64 v[38:39], v[34:35], -v[2:3]
	v_fma_f64 v[56:57], v[56:57], -0.5, v[8:9]
	v_fma_f64 v[8:9], v[58:59], -0.5, v[8:9]
	;; [unrolled: 1-line block ×4, first 2 shown]
	v_add_f64 v[60:61], v[66:67], v[64:65]
	v_add_f64 v[62:63], v[75:76], v[73:74]
	v_fma_f64 v[81:82], v[48:49], s[0:1], v[40:41]
	v_fma_f64 v[83:84], v[50:51], s[10:11], v[42:43]
	;; [unrolled: 1-line block ×8, first 2 shown]
	v_add_f64 v[20:21], v[24:25], v[20:21]
	v_add_f64 v[22:23], v[26:27], v[22:23]
	v_fma_f64 v[24:25], v[38:39], s[0:1], v[56:57]
	v_fma_f64 v[26:27], v[38:39], s[10:11], v[56:57]
	;; [unrolled: 1-line block ×8, first 2 shown]
	v_add_f64 v[50:51], v[87:88], v[85:86]
	v_fma_f64 v[73:74], v[52:53], s[4:5], v[89:90]
	v_add_f64 v[48:49], v[79:80], v[77:78]
	v_fma_f64 v[75:76], v[54:55], s[4:5], v[91:92]
	v_add_f64 v[77:78], v[32:33], -v[28:29]
	v_add_f64 v[32:33], v[28:29], -v[32:33]
	;; [unrolled: 1-line block ×4, first 2 shown]
	v_add_f64 v[28:29], v[28:29], v[36:37]
	v_add_f64 v[30:31], v[30:31], v[93:94]
	v_add_f64 v[79:80], v[0:1], -v[12:13]
	v_add_f64 v[81:82], v[12:13], -v[0:1]
	;; [unrolled: 1-line block ×3, first 2 shown]
	v_fma_f64 v[36:37], v[95:96], s[10:11], v[8:9]
	v_fma_f64 v[8:9], v[95:96], s[0:1], v[8:9]
	;; [unrolled: 1-line block ×4, first 2 shown]
	v_add_f64 v[87:88], v[14:15], -v[2:3]
	v_fma_f64 v[89:90], v[99:100], s[0:1], v[10:11]
	v_fma_f64 v[10:11], v[99:100], s[10:11], v[10:11]
	v_add_f64 v[16:17], v[16:17], v[20:21]
	v_add_f64 v[18:19], v[18:19], v[22:23]
	v_fma_f64 v[20:21], v[95:96], s[4:5], v[24:25]
	v_fma_f64 v[22:23], v[95:96], s[12:13], v[26:27]
	;; [unrolled: 1-line block ×9, first 2 shown]
	v_add_f64 v[12:13], v[12:13], v[28:29]
	v_add_f64 v[14:15], v[14:15], v[30:31]
	;; [unrolled: 1-line block ×5, first 2 shown]
	v_fma_f64 v[24:25], v[38:39], s[4:5], v[36:37]
	v_fma_f64 v[8:9], v[38:39], s[12:13], v[8:9]
	;; [unrolled: 1-line block ×4, first 2 shown]
	v_add_f64 v[34:35], v[87:88], v[34:35]
	v_fma_f64 v[28:29], v[99:100], s[4:5], v[58:59]
	v_fma_f64 v[30:31], v[97:98], s[12:13], v[89:90]
	;; [unrolled: 1-line block ×3, first 2 shown]
	v_add_f64 v[4:5], v[4:5], v[16:17]
	v_add_f64 v[6:7], v[6:7], v[18:19]
	v_mul_f64 v[44:45], v[52:53], s[16:17]
	v_mul_f64 v[52:53], v[52:53], s[12:13]
	;; [unrolled: 1-line block ×8, first 2 shown]
	v_add_f64 v[12:13], v[0:1], v[12:13]
	v_add_f64 v[14:15], v[2:3], v[14:15]
	v_fma_f64 v[73:74], v[64:65], s[14:15], v[20:21]
	v_fma_f64 v[64:65], v[64:65], s[14:15], v[22:23]
	;; [unrolled: 1-line block ×9, first 2 shown]
	v_fma_f64 v[44:45], v[60:61], s[0:1], -v[48:49]
	v_fma_f64 v[48:49], v[36:37], s[16:17], v[52:53]
	v_fma_f64 v[28:29], v[38:39], s[0:1], v[46:47]
	;; [unrolled: 1-line block ×3, first 2 shown]
	v_fma_f64 v[42:43], v[42:43], s[10:11], -v[56:57]
	v_fma_f64 v[46:47], v[62:63], s[4:5], -v[50:51]
	;; [unrolled: 1-line block ×3, first 2 shown]
	v_and_b32_e32 v50, 0xff, v113
	v_add_nc_u16 v51, v113, 0x55
	v_add_f64 v[0:1], v[4:5], v[12:13]
	v_add_f64 v[2:3], v[6:7], v[14:15]
	v_add_f64 v[4:5], v[12:13], -v[4:5]
	v_add_f64 v[6:7], v[14:15], -v[6:7]
	v_add_f64 v[8:9], v[73:74], v[24:25]
	v_add_f64 v[24:25], v[73:74], -v[24:25]
	v_add_f64 v[16:17], v[32:33], v[44:45]
	v_add_f64 v[10:11], v[26:27], v[48:49]
	;; [unrolled: 1-line block ×7, first 2 shown]
	v_add_f64 v[26:27], v[26:27], -v[48:49]
	v_add_f64 v[28:29], v[75:76], -v[28:29]
	;; [unrolled: 1-line block ×6, first 2 shown]
	v_mul_lo_u16 v40, 0xcd, v50
	v_and_b32_e32 v41, 0xff, v51
	v_add_f64 v[36:37], v[64:65], -v[46:47]
	v_mul_u32_u24_e32 v42, 10, v113
	s_delay_alu instid0(VALU_DEP_4) | instskip(NEXT) | instid1(VALU_DEP_4)
	v_lshrrev_b16 v67, 11, v40
	v_mul_lo_u16 v40, 0xcd, v41
	s_delay_alu instid0(VALU_DEP_2) | instskip(NEXT) | instid1(VALU_DEP_2)
	v_mul_lo_u16 v41, v67, 10
	v_lshrrev_b16 v72, 11, v40
	s_delay_alu instid0(VALU_DEP_2) | instskip(NEXT) | instid1(VALU_DEP_2)
	v_sub_nc_u16 v40, v113, v41
	v_mul_lo_u16 v41, v72, 10
	s_delay_alu instid0(VALU_DEP_2) | instskip(NEXT) | instid1(VALU_DEP_2)
	v_and_b32_e32 v111, 0xff, v40
	v_sub_nc_u16 v40, v51, v41
	v_lshl_add_u32 v41, v42, 4, 0
	ds_store_b128 v41, v[0:3]
	ds_store_b128 v41, v[8:11] offset:16
	ds_store_b128 v41, v[12:15] offset:32
	ds_store_b128 v41, v[16:19] offset:48
	ds_store_b128 v41, v[20:23] offset:64
	ds_store_b128 v41, v[4:7] offset:80
	ds_store_b128 v41, v[24:27] offset:96
	ds_store_b128 v41, v[28:31] offset:112
	ds_store_b128 v41, v[32:35] offset:128
	ds_store_b128 v41, v[36:39] offset:144
	v_and_b32_e32 v112, 0xff, v40
	v_lshlrev_b32_e32 v42, 6, v111
	s_waitcnt lgkmcnt(0)
	s_barrier
	buffer_gl0_inv
	v_lshlrev_b32_e32 v28, 6, v112
	s_clause 0x7
	global_load_b128 v[0:3], v42, s[8:9]
	global_load_b128 v[4:7], v42, s[8:9] offset:16
	global_load_b128 v[8:11], v42, s[8:9] offset:32
	;; [unrolled: 1-line block ×3, first 2 shown]
	global_load_b128 v[16:19], v28, s[8:9]
	global_load_b128 v[20:23], v28, s[8:9] offset:16
	global_load_b128 v[24:27], v28, s[8:9] offset:32
	;; [unrolled: 1-line block ×3, first 2 shown]
	v_mad_i32_i24 v28, 0xffffff70, v113, v41
	ds_load_b128 v[33:36], v28 offset:2720
	ds_load_b128 v[37:40], v28 offset:5440
	;; [unrolled: 1-line block ×8, first 2 shown]
	s_waitcnt vmcnt(7) lgkmcnt(7)
	v_mul_f64 v[65:66], v[35:36], v[2:3]
	s_waitcnt vmcnt(6) lgkmcnt(6)
	v_mul_f64 v[73:74], v[39:40], v[6:7]
	;; [unrolled: 2-line block ×3, first 2 shown]
	v_mul_f64 v[2:3], v[33:34], v[2:3]
	s_waitcnt vmcnt(4) lgkmcnt(4)
	v_mul_f64 v[77:78], v[47:48], v[14:15]
	v_mul_f64 v[6:7], v[37:38], v[6:7]
	;; [unrolled: 1-line block ×4, first 2 shown]
	s_waitcnt vmcnt(3) lgkmcnt(3)
	v_mul_f64 v[79:80], v[51:52], v[18:19]
	s_waitcnt vmcnt(2) lgkmcnt(2)
	v_mul_f64 v[81:82], v[55:56], v[22:23]
	;; [unrolled: 2-line block ×3, first 2 shown]
	v_mul_f64 v[22:23], v[53:54], v[22:23]
	s_waitcnt vmcnt(0) lgkmcnt(0)
	v_mul_f64 v[85:86], v[63:64], v[31:32]
	v_mul_f64 v[26:27], v[57:58], v[26:27]
	;; [unrolled: 1-line block ×4, first 2 shown]
	v_fma_f64 v[33:34], v[33:34], v[0:1], -v[65:66]
	v_fma_f64 v[37:38], v[37:38], v[4:5], -v[73:74]
	;; [unrolled: 1-line block ×3, first 2 shown]
	v_fma_f64 v[35:36], v[35:36], v[0:1], v[2:3]
	v_fma_f64 v[45:46], v[45:46], v[12:13], -v[77:78]
	v_fma_f64 v[39:40], v[39:40], v[4:5], v[6:7]
	v_fma_f64 v[8:9], v[43:44], v[8:9], v[10:11]
	;; [unrolled: 1-line block ×3, first 2 shown]
	v_fma_f64 v[12:13], v[49:50], v[16:17], -v[79:80]
	v_fma_f64 v[14:15], v[53:54], v[20:21], -v[81:82]
	;; [unrolled: 1-line block ×3, first 2 shown]
	v_fma_f64 v[20:21], v[55:56], v[20:21], v[22:23]
	v_fma_f64 v[22:23], v[61:62], v[29:30], -v[85:86]
	v_fma_f64 v[24:25], v[59:60], v[24:25], v[26:27]
	v_fma_f64 v[16:17], v[51:52], v[16:17], v[18:19]
	;; [unrolled: 1-line block ×3, first 2 shown]
	ds_load_b128 v[0:3], v28
	ds_load_b128 v[4:7], v28 offset:1360
	s_waitcnt lgkmcnt(0)
	s_barrier
	buffer_gl0_inv
	v_add_f64 v[57:58], v[0:1], v[33:34]
	v_add_f64 v[26:27], v[37:38], v[41:42]
	;; [unrolled: 1-line block ×4, first 2 shown]
	v_add_f64 v[75:76], v[33:34], -v[45:46]
	v_add_f64 v[31:32], v[39:40], v[8:9]
	v_add_f64 v[47:48], v[35:36], v[10:11]
	;; [unrolled: 1-line block ×3, first 2 shown]
	v_add_f64 v[65:66], v[35:36], -v[10:11]
	v_add_f64 v[49:50], v[14:15], v[43:44]
	v_add_f64 v[73:74], v[39:40], -v[8:9]
	v_add_f64 v[51:52], v[12:13], v[22:23]
	v_add_f64 v[53:54], v[20:21], v[24:25]
	;; [unrolled: 1-line block ×4, first 2 shown]
	v_add_f64 v[77:78], v[16:17], -v[18:19]
	v_add_f64 v[79:80], v[12:13], -v[22:23]
	;; [unrolled: 1-line block ×16, first 2 shown]
	v_fma_f64 v[26:27], v[26:27], -0.5, v[0:1]
	v_add_f64 v[39:40], v[59:60], v[39:40]
	v_fma_f64 v[0:1], v[29:30], -0.5, v[0:1]
	v_add_f64 v[29:30], v[37:38], -v[41:42]
	v_fma_f64 v[31:32], v[31:32], -0.5, v[2:3]
	v_fma_f64 v[2:3], v[47:48], -0.5, v[2:3]
	v_add_f64 v[47:48], v[20:21], -v[24:25]
	v_fma_f64 v[49:50], v[49:50], -0.5, v[4:5]
	;; [unrolled: 3-line block ×3, first 2 shown]
	v_fma_f64 v[6:7], v[55:56], -0.5, v[6:7]
	v_add_f64 v[55:56], v[33:34], -v[37:38]
	v_add_f64 v[33:34], v[37:38], -v[33:34]
	v_add_f64 v[37:38], v[57:58], v[37:38]
	v_add_f64 v[14:15], v[61:62], v[14:15]
	;; [unrolled: 1-line block ×4, first 2 shown]
	v_fma_f64 v[57:58], v[65:66], s[0:1], v[26:27]
	v_fma_f64 v[26:27], v[65:66], s[10:11], v[26:27]
	;; [unrolled: 1-line block ×16, first 2 shown]
	v_add_f64 v[55:56], v[55:56], v[81:82]
	v_add_f64 v[81:82], v[33:34], v[83:84]
	;; [unrolled: 1-line block ×11, first 2 shown]
	v_cmp_gt_u32_e64 s0, 50, v113
	v_fma_f64 v[24:25], v[73:74], s[4:5], v[57:58]
	v_fma_f64 v[26:27], v[73:74], s[12:13], v[26:27]
	;; [unrolled: 1-line block ×16, first 2 shown]
	v_add_f64 v[0:1], v[12:13], v[45:46]
	v_add_f64 v[2:3], v[8:9], v[10:11]
	;; [unrolled: 1-line block ×4, first 2 shown]
	v_lshlrev_b32_e32 v18, 4, v111
	v_lshlrev_b32_e32 v19, 4, v112
                                        ; implicit-def: $vgpr22_vgpr23
	v_fma_f64 v[32:33], v[55:56], s[14:15], v[24:25]
	v_fma_f64 v[12:13], v[55:56], s[14:15], v[26:27]
	;; [unrolled: 1-line block ×16, first 2 shown]
	v_and_b32_e32 v16, 0xffff, v67
	v_and_b32_e32 v17, 0xffff, v72
                                        ; implicit-def: $vgpr30_vgpr31
                                        ; implicit-def: $vgpr26_vgpr27
                                        ; implicit-def: $vgpr54_vgpr55
                                        ; implicit-def: $vgpr58_vgpr59
                                        ; implicit-def: $vgpr66_vgpr67
	s_delay_alu instid0(VALU_DEP_2) | instskip(NEXT) | instid1(VALU_DEP_2)
	v_mul_u32_u24_e32 v16, 0x320, v16
	v_mul_u32_u24_e32 v17, 0x320, v17
	s_delay_alu instid0(VALU_DEP_2) | instskip(NEXT) | instid1(VALU_DEP_2)
	v_add3_u32 v16, 0, v16, v18
	v_add3_u32 v17, 0, v17, v19
	ds_store_b128 v16, v[0:3]
	ds_store_b128 v16, v[32:35] offset:160
	ds_store_b128 v16, v[4:7] offset:320
	ds_store_b128 v16, v[8:11] offset:480
	ds_store_b128 v16, v[12:15] offset:640
	ds_store_b128 v17, v[36:39]
	ds_store_b128 v17, v[40:43] offset:160
	ds_store_b128 v17, v[44:47] offset:320
	;; [unrolled: 1-line block ×4, first 2 shown]
	s_waitcnt lgkmcnt(0)
	s_barrier
	buffer_gl0_inv
                                        ; implicit-def: $vgpr18_vgpr19
	s_and_saveexec_b32 s1, s0
	s_cbranch_execz .LBB0_15
; %bb.14:
	ds_load_b128 v[0:3], v28
	ds_load_b128 v[32:35], v28 offset:800
	ds_load_b128 v[4:7], v28 offset:1600
	ds_load_b128 v[8:11], v28 offset:2400
	ds_load_b128 v[12:15], v28 offset:3200
	ds_load_b128 v[36:39], v28 offset:4000
	ds_load_b128 v[40:43], v28 offset:4800
	ds_load_b128 v[44:47], v28 offset:5600
	ds_load_b128 v[60:63], v28 offset:6400
	ds_load_b128 v[48:51], v28 offset:7200
	ds_load_b128 v[64:67], v28 offset:8000
	ds_load_b128 v[56:59], v28 offset:8800
	ds_load_b128 v[52:55], v28 offset:9600
	ds_load_b128 v[16:19], v28 offset:10400
	ds_load_b128 v[20:23], v28 offset:11200
	ds_load_b128 v[24:27], v28 offset:12000
	ds_load_b128 v[28:31], v28 offset:12800
.LBB0_15:
	s_or_b32 exec_lo, exec_lo, s1
	v_cmp_gt_u32_e64 s1, 50, v113
	s_delay_alu instid0(VALU_DEP_1) | instskip(NEXT) | instid1(SALU_CYCLE_1)
	s_and_b32 s1, vcc_lo, s1
	s_and_saveexec_b32 s4, s1
	s_cbranch_execz .LBB0_17
; %bb.16:
	v_lshlrev_b32_e32 v72, 4, v113
	s_mov_b32 s28, 0xc61f0d01
	s_mov_b32 s29, 0xbfd183b1
	;; [unrolled: 1-line block ×4, first 2 shown]
	v_dual_mov_b32 v74, 0 :: v_dual_add_nc_u32 v73, 0xfffffce0, v72
	s_mov_b32 s51, 0xbfeec746
	s_mov_b32 s50, s34
	;; [unrolled: 1-line block ×3, first 2 shown]
	s_delay_alu instid0(VALU_DEP_1)
	v_cndmask_b32_e64 v73, v73, v72, s0
	s_mov_b32 s0, 0x7faef3
	s_mov_b32 s18, 0x75d4884
	;; [unrolled: 1-line block ×4, first 2 shown]
	v_lshlrev_b64 v[75:76], 4, v[73:74]
	s_mov_b32 s26, 0x2b2883cd
	s_mov_b32 s48, 0x7c9e640b
	s_mov_b32 s38, 0x3259b75e
	s_mov_b32 s1, 0xbfef7484
	s_mov_b32 s13, 0xbfeb34fa
	v_add_co_u32 v79, vcc_lo, s8, v75
	v_add_co_ci_u32_e32 v80, vcc_lo, s9, v76, vcc_lo
	s_mov_b32 s8, 0x370991
	s_mov_b32 s9, 0x3fedd6d0
	;; [unrolled: 1-line block ×3, first 2 shown]
	s_clause 0x1
	global_load_b128 v[81:84], v[79:80], off offset:752
	global_load_b128 v[85:88], v[79:80], off offset:736
	s_mov_b32 s45, 0xbfe58eea
	s_mov_b32 s17, 0xbfe348c8
	;; [unrolled: 1-line block ×29, first 2 shown]
	s_waitcnt vmcnt(1) lgkmcnt(8)
	v_mul_f64 v[75:76], v[62:63], v[81:82]
	v_mul_f64 v[62:63], v[62:63], v[83:84]
	s_delay_alu instid0(VALU_DEP_2) | instskip(NEXT) | instid1(VALU_DEP_2)
	v_fma_f64 v[72:73], v[60:61], v[83:84], v[75:76]
	v_fma_f64 v[75:76], v[60:61], v[81:82], -v[62:63]
	s_clause 0x1
	global_load_b128 v[81:84], v[79:80], off offset:768
	global_load_b128 v[89:92], v[79:80], off offset:784
	s_waitcnt vmcnt(1) lgkmcnt(7)
	v_mul_f64 v[62:63], v[50:51], v[81:82]
	v_mul_f64 v[50:51], v[50:51], v[83:84]
	s_delay_alu instid0(VALU_DEP_2) | instskip(NEXT) | instid1(VALU_DEP_2)
	v_fma_f64 v[77:78], v[48:49], v[83:84], v[62:63]
	v_fma_f64 v[48:49], v[48:49], v[81:82], -v[50:51]
	v_mul_f64 v[50:51], v[46:47], v[85:86]
	v_mul_f64 v[46:47], v[46:47], v[87:88]
	s_delay_alu instid0(VALU_DEP_2) | instskip(NEXT) | instid1(VALU_DEP_2)
	v_fma_f64 v[171:172], v[44:45], v[87:88], v[50:51]
	v_fma_f64 v[173:174], v[44:45], v[85:86], -v[46:47]
	s_clause 0x1
	global_load_b128 v[81:84], v[79:80], off offset:720
	global_load_b128 v[85:88], v[79:80], off offset:704
	s_waitcnt vmcnt(2) lgkmcnt(6)
	v_mul_f64 v[46:47], v[66:67], v[89:90]
	v_mul_f64 v[66:67], v[66:67], v[91:92]
	s_delay_alu instid0(VALU_DEP_2) | instskip(NEXT) | instid1(VALU_DEP_2)
	v_fma_f64 v[46:47], v[64:65], v[91:92], v[46:47]
	v_fma_f64 v[60:61], v[64:65], v[89:90], -v[66:67]
	s_waitcnt vmcnt(1)
	v_mul_f64 v[66:67], v[42:43], v[81:82]
	v_mul_f64 v[42:43], v[42:43], v[83:84]
	s_delay_alu instid0(VALU_DEP_2) | instskip(NEXT) | instid1(VALU_DEP_2)
	v_fma_f64 v[62:63], v[40:41], v[83:84], v[66:67]
	v_fma_f64 v[64:65], v[40:41], v[81:82], -v[42:43]
	s_clause 0x1
	global_load_b128 v[81:84], v[79:80], off offset:800
	global_load_b128 v[89:92], v[79:80], off offset:816
	s_waitcnt vmcnt(1) lgkmcnt(5)
	v_mul_f64 v[42:43], v[58:59], v[81:82]
	v_mul_f64 v[58:59], v[58:59], v[83:84]
	s_delay_alu instid0(VALU_DEP_2) | instskip(NEXT) | instid1(VALU_DEP_2)
	v_fma_f64 v[66:67], v[56:57], v[83:84], v[42:43]
	v_fma_f64 v[56:57], v[56:57], v[81:82], -v[58:59]
	v_mul_f64 v[58:59], v[38:39], v[85:86]
	v_mul_f64 v[38:39], v[38:39], v[87:88]
	s_delay_alu instid0(VALU_DEP_4) | instskip(SKIP_1) | instid1(VALU_DEP_4)
	v_add_f64 v[195:196], v[62:63], v[66:67]
	v_add_f64 v[199:200], v[62:63], -v[66:67]
	v_fma_f64 v[179:180], v[36:37], v[87:88], v[58:59]
	s_delay_alu instid0(VALU_DEP_4)
	v_fma_f64 v[181:182], v[36:37], v[85:86], -v[38:39]
	s_waitcnt vmcnt(0) lgkmcnt(4)
	v_mul_f64 v[36:37], v[54:55], v[89:90]
	v_mul_f64 v[38:39], v[54:55], v[91:92]
	;; [unrolled: 1-line block ×6, first 2 shown]
	v_fma_f64 v[58:59], v[52:53], v[91:92], v[36:37]
	v_fma_f64 v[37:38], v[52:53], v[89:90], -v[38:39]
	s_clause 0x1
	global_load_b128 v[52:55], v[79:80], off offset:640
	global_load_b128 v[87:90], v[79:80], off offset:656
	v_mov_b32_e32 v36, v113
	v_mul_f64 v[245:246], v[199:200], s[34:35]
	v_add_f64 v[191:192], v[179:180], v[58:59]
	v_add_f64 v[193:194], v[179:180], -v[58:59]
	s_delay_alu instid0(VALU_DEP_2) | instskip(NEXT) | instid1(VALU_DEP_2)
	v_mul_f64 v[239:240], v[191:192], s[12:13]
	v_mul_f64 v[241:242], v[193:194], s[14:15]
	s_waitcnt vmcnt(1)
	v_mul_f64 v[81:82], v[34:35], v[52:53]
	v_mul_f64 v[34:35], v[34:35], v[54:55]
	s_delay_alu instid0(VALU_DEP_2) | instskip(NEXT) | instid1(VALU_DEP_2)
	v_fma_f64 v[83:84], v[32:33], v[54:55], v[81:82]
	v_fma_f64 v[85:86], v[32:33], v[52:53], -v[34:35]
	s_clause 0x1
	global_load_b128 v[52:55], v[79:80], off offset:880
	global_load_b128 v[91:94], v[79:80], off offset:864
	s_waitcnt vmcnt(1) lgkmcnt(0)
	v_mul_f64 v[32:33], v[30:31], v[52:53]
	v_mul_f64 v[30:31], v[30:31], v[54:55]
	s_delay_alu instid0(VALU_DEP_2) | instskip(NEXT) | instid1(VALU_DEP_2)
	v_fma_f64 v[32:33], v[28:29], v[54:55], v[32:33]
	v_fma_f64 v[28:29], v[28:29], v[52:53], -v[30:31]
	s_clause 0x1
	global_load_b128 v[52:55], v[79:80], off offset:688
	global_load_b128 v[95:98], v[79:80], off offset:672
	v_add_f64 v[123:124], v[85:86], v[28:29]
	s_waitcnt vmcnt(1)
	v_mul_f64 v[30:31], v[14:15], v[52:53]
	v_mul_f64 v[14:15], v[14:15], v[54:55]
	s_delay_alu instid0(VALU_DEP_2) | instskip(NEXT) | instid1(VALU_DEP_2)
	v_fma_f64 v[30:31], v[12:13], v[54:55], v[30:31]
	v_fma_f64 v[34:35], v[12:13], v[52:53], -v[14:15]
	s_clause 0x1
	global_load_b128 v[52:55], v[79:80], off offset:832
	global_load_b128 v[79:82], v[79:80], off offset:848
	scratch_store_b64 off, v[32:33], off    ; 8-byte Folded Spill
	s_waitcnt vmcnt(1)
	v_mul_f64 v[12:13], v[18:19], v[52:53]
	v_mul_f64 v[14:15], v[18:19], v[54:55]
	s_delay_alu instid0(VALU_DEP_2) | instskip(NEXT) | instid1(VALU_DEP_2)
	v_fma_f64 v[12:13], v[16:17], v[54:55], v[12:13]
	v_fma_f64 v[14:15], v[16:17], v[52:53], -v[14:15]
	v_mul_f64 v[16:17], v[10:11], v[95:96]
	v_mul_f64 v[10:11], v[10:11], v[97:98]
	s_delay_alu instid0(VALU_DEP_4) | instskip(SKIP_1) | instid1(VALU_DEP_4)
	v_add_f64 v[187:188], v[30:31], v[12:13]
	v_add_f64 v[189:190], v[30:31], -v[12:13]
	v_fma_f64 v[52:53], v[8:9], v[97:98], v[16:17]
	s_delay_alu instid0(VALU_DEP_4) | instskip(SKIP_4) | instid1(VALU_DEP_3)
	v_fma_f64 v[54:55], v[8:9], v[95:96], -v[10:11]
	s_waitcnt vmcnt(0)
	v_mul_f64 v[8:9], v[22:23], v[79:80]
	v_mul_f64 v[235:236], v[187:188], s[0:1]
	;; [unrolled: 1-line block ×3, first 2 shown]
	v_fma_f64 v[16:17], v[20:21], v[81:82], v[8:9]
	v_mul_f64 v[8:9], v[22:23], v[81:82]
	s_delay_alu instid0(VALU_DEP_1) | instskip(SKIP_2) | instid1(VALU_DEP_2)
	v_fma_f64 v[18:19], v[20:21], v[79:80], -v[8:9]
	v_mul_f64 v[8:9], v[6:7], v[87:88]
	v_mul_f64 v[6:7], v[6:7], v[89:90]
	v_fma_f64 v[79:80], v[4:5], v[89:90], v[8:9]
	s_delay_alu instid0(VALU_DEP_2) | instskip(SKIP_2) | instid1(VALU_DEP_2)
	v_fma_f64 v[81:82], v[4:5], v[87:88], -v[6:7]
	v_mul_f64 v[4:5], v[26:27], v[91:92]
	v_add_f64 v[6:7], v[83:84], v[32:33]
	v_fma_f64 v[20:21], v[24:25], v[93:94], v[4:5]
	v_mul_f64 v[4:5], v[26:27], v[93:94]
	s_delay_alu instid0(VALU_DEP_3)
	v_mul_f64 v[8:9], v[6:7], s[12:13]
	v_mul_f64 v[10:11], v[6:7], s[16:17]
	;; [unrolled: 1-line block ×5, first 2 shown]
	v_fma_f64 v[22:23], v[24:25], v[91:92], -v[4:5]
	v_mul_f64 v[24:25], v[6:7], s[28:29]
	v_add_f64 v[91:92], v[85:86], -v[28:29]
	v_mul_f64 v[4:5], v[6:7], s[0:1]
	v_mul_f64 v[6:7], v[6:7], s[8:9]
	s_delay_alu instid0(VALU_DEP_3)
	v_fma_f64 v[99:100], v[91:92], s[34:35], v[24:25]
	v_fma_f64 v[101:102], v[91:92], s[50:51], v[24:25]
	v_add_f64 v[24:25], v[83:84], -v[32:33]
	v_fma_f64 v[93:94], v[91:92], s[4:5], v[4:5]
	v_fma_f64 v[4:5], v[91:92], s[24:25], v[4:5]
	;; [unrolled: 1-line block ×14, first 2 shown]
	v_mul_f64 v[32:33], v[195:196], s[8:9]
	v_add_f64 v[155:156], v[2:3], v[99:100]
	v_add_f64 v[159:160], v[2:3], v[101:102]
	v_mul_f64 v[119:120], v[24:25], s[48:49]
	v_mul_f64 v[121:122], v[24:25], s[44:45]
	;; [unrolled: 1-line block ×8, first 2 shown]
	v_add_f64 v[145:146], v[2:3], v[8:9]
	v_add_f64 v[93:94], v[2:3], v[93:94]
	;; [unrolled: 1-line block ×3, first 2 shown]
	v_add_f64 v[87:88], v[81:82], -v[22:23]
	v_add_f64 v[183:184], v[2:3], v[89:90]
	v_add_f64 v[89:90], v[81:82], v[22:23]
	;; [unrolled: 1-line block ×10, first 2 shown]
	v_fma_f64 v[137:138], v[123:124], s[26:27], v[119:120]
	v_fma_f64 v[119:120], v[123:124], s[26:27], -v[119:120]
	v_fma_f64 v[139:140], v[123:124], s[18:19], v[121:122]
	v_fma_f64 v[121:122], v[123:124], s[18:19], -v[121:122]
	;; [unrolled: 2-line block ×4, first 2 shown]
	v_fma_f64 v[131:132], v[123:124], s[16:17], -v[113:114]
	v_fma_f64 v[113:114], v[123:124], s[16:17], v[113:114]
	v_fma_f64 v[133:134], v[123:124], s[28:29], v[115:116]
	v_fma_f64 v[115:116], v[123:124], s[28:29], -v[115:116]
	v_fma_f64 v[135:136], v[123:124], s[38:39], v[117:118]
	v_fma_f64 v[117:118], v[123:124], s[38:39], -v[117:118]
	;; [unrolled: 2-line block ×3, first 2 shown]
	v_add_f64 v[24:25], v[2:3], v[83:84]
	scratch_store_b64 off, v[28:29], off offset:8 ; 8-byte Folded Spill
	v_add_f64 v[83:84], v[2:3], v[111:112]
	v_add_f64 v[42:43], v[0:1], v[137:138]
	;; [unrolled: 1-line block ×5, first 2 shown]
	v_add_f64 v[121:122], v[79:80], -v[20:21]
	v_add_f64 v[125:126], v[0:1], v[125:126]
	v_add_f64 v[127:128], v[0:1], v[127:128]
	v_add_f64 v[129:130], v[0:1], v[129:130]
	v_add_f64 v[147:148], v[0:1], v[91:92]
	v_add_f64 v[131:132], v[0:1], v[131:132]
	v_add_f64 v[153:154], v[0:1], v[113:114]
	v_add_f64 v[161:162], v[0:1], v[115:116]
	v_add_f64 v[157:158], v[0:1], v[133:134]
	v_add_f64 v[169:170], v[0:1], v[117:118]
	v_add_f64 v[117:118], v[2:3], v[6:7]
	v_add_f64 v[115:116], v[0:1], v[123:124]
	scratch_store_b64 off, v[24:25], off offset:16 ; 8-byte Folded Spill
	v_add_f64 v[123:124], v[52:53], v[16:17]
	v_add_f64 v[24:25], v[0:1], v[85:86]
	;; [unrolled: 1-line block ×5, first 2 shown]
	v_add_f64 v[91:92], v[54:55], -v[18:19]
	v_mul_f64 v[135:136], v[187:188], s[18:19]
	v_mul_f64 v[137:138], v[189:190], s[22:23]
	;; [unrolled: 1-line block ×8, first 2 shown]
	s_clause 0x12
	scratch_store_b64 off, v[24:25], off offset:24
	scratch_store_b64 off, v[20:21], off offset:32
	;; [unrolled: 1-line block ×19, first 2 shown]
	v_mov_b32_e32 v58, v171
	v_mov_b32_e32 v63, v47
	v_dual_mov_b32 v59, v172 :: v_dual_mov_b32 v62, v46
	s_clause 0x2
	scratch_store_b64 off, v[64:65], off offset:184
	scratch_store_b64 off, v[56:57], off offset:152
	;; [unrolled: 1-line block ×3, first 2 shown]
	v_mul_f64 v[179:180], v[189:190], s[34:35]
	v_mul_f64 v[171:172], v[193:194], s[22:23]
	;; [unrolled: 1-line block ×5, first 2 shown]
	v_fma_f64 v[0:1], v[87:88], s[10:11], v[6:7]
	v_fma_f64 v[6:7], v[87:88], s[46:47], v[6:7]
	;; [unrolled: 1-line block ×3, first 2 shown]
	s_delay_alu instid0(VALU_DEP_3) | instskip(SKIP_1) | instid1(VALU_DEP_3)
	v_add_f64 v[0:1], v[0:1], v[93:94]
	v_fma_f64 v[93:94], v[91:92], s[14:15], v[10:11]
	v_add_f64 v[2:3], v[2:3], v[125:126]
	v_add_f64 v[125:126], v[52:53], -v[16:17]
	v_add_f64 v[4:5], v[6:7], v[4:5]
	v_fma_f64 v[6:7], v[89:90], s[8:9], -v[8:9]
	v_fma_f64 v[8:9], v[91:92], s[30:31], v[10:11]
	v_mov_b32_e32 v52, v75
	v_mul_f64 v[16:17], v[187:188], s[8:9]
	v_mov_b32_e32 v53, v76
	v_add_f64 v[0:1], v[93:94], v[0:1]
	v_add_f64 v[93:94], v[54:55], v[18:19]
	v_mul_f64 v[133:134], v[125:126], s[30:31]
	v_mov_b32_e32 v54, v77
	v_add_f64 v[6:7], v[6:7], v[127:128]
	v_add_f64 v[4:5], v[8:9], v[4:5]
	v_mul_f64 v[127:128], v[119:120], s[26:27]
	v_mul_f64 v[233:234], v[125:126], s[42:43]
	;; [unrolled: 1-line block ×3, first 2 shown]
	v_mov_b32_e32 v55, v78
	v_fma_f64 v[95:96], v[93:94], s[12:13], v[133:134]
	v_fma_f64 v[8:9], v[93:94], s[12:13], -v[133:134]
	v_mul_f64 v[133:134], v[121:122], s[36:37]
	s_delay_alu instid0(VALU_DEP_3) | instskip(SKIP_1) | instid1(VALU_DEP_4)
	v_add_f64 v[2:3], v[95:96], v[2:3]
	v_add_f64 v[95:96], v[34:35], -v[14:15]
	v_add_f64 v[6:7], v[8:9], v[6:7]
	s_delay_alu instid0(VALU_DEP_2) | instskip(SKIP_1) | instid1(VALU_DEP_2)
	v_fma_f64 v[97:98], v[95:96], s[44:45], v[135:136]
	v_fma_f64 v[8:9], v[95:96], s[22:23], v[135:136]
	v_add_f64 v[0:1], v[97:98], v[0:1]
	v_add_f64 v[97:98], v[34:35], v[14:15]
	s_delay_alu instid0(VALU_DEP_3) | instskip(SKIP_2) | instid1(VALU_DEP_4)
	v_add_f64 v[4:5], v[8:9], v[4:5]
	v_mul_f64 v[34:35], v[119:120], s[16:17]
	v_mul_f64 v[14:15], v[189:190], s[46:47]
	v_fma_f64 v[99:100], v[97:98], s[18:19], v[137:138]
	v_fma_f64 v[8:9], v[97:98], s[18:19], -v[137:138]
	s_delay_alu instid0(VALU_DEP_2) | instskip(SKIP_1) | instid1(VALU_DEP_3)
	v_add_f64 v[2:3], v[99:100], v[2:3]
	v_add_f64 v[99:100], v[181:182], -v[37:38]
	v_add_f64 v[6:7], v[8:9], v[6:7]
	s_delay_alu instid0(VALU_DEP_2) | instskip(SKIP_1) | instid1(VALU_DEP_2)
	v_fma_f64 v[101:102], v[99:100], s[20:21], v[139:140]
	v_fma_f64 v[8:9], v[99:100], s[42:43], v[139:140]
	v_add_f64 v[0:1], v[101:102], v[0:1]
	v_add_f64 v[101:102], v[181:182], v[37:38]
	v_mov_b32_e32 v37, v72
	v_add_f64 v[203:204], v[58:59], v[62:63]
	v_add_f64 v[4:5], v[8:9], v[4:5]
	v_mov_b32_e32 v38, v73
	v_mul_f64 v[72:73], v[125:126], s[4:5]
	v_mul_f64 v[181:182], v[187:188], s[28:29]
	s_delay_alu instid0(VALU_DEP_3)
	v_add_f64 v[217:218], v[37:38], -v[54:55]
	v_add_f64 v[213:214], v[37:38], v[54:55]
	v_fma_f64 v[103:104], v[101:102], s[16:17], v[141:142]
	v_fma_f64 v[8:9], v[101:102], s[16:17], -v[141:142]
	v_mul_f64 v[205:206], v[203:204], s[28:29]
	v_mul_f64 v[223:224], v[203:204], s[8:9]
	;; [unrolled: 1-line block ×12, first 2 shown]
	v_add_f64 v[2:3], v[103:104], v[2:3]
	v_add_f64 v[103:104], v[64:65], -v[56:57]
	v_add_f64 v[6:7], v[8:9], v[6:7]
	s_delay_alu instid0(VALU_DEP_2) | instskip(SKIP_1) | instid1(VALU_DEP_2)
	v_fma_f64 v[105:106], v[103:104], s[48:49], v[197:198]
	v_fma_f64 v[8:9], v[103:104], s[36:37], v[197:198]
	v_add_f64 v[0:1], v[105:106], v[0:1]
	v_add_f64 v[105:106], v[64:65], v[56:57]
	s_delay_alu instid0(VALU_DEP_3) | instskip(SKIP_1) | instid1(VALU_DEP_1)
	v_add_f64 v[4:5], v[8:9], v[4:5]
	v_dual_mov_b32 v57, v49 :: v_dual_mov_b32 v56, v48
	v_add_f64 v[113:114], v[52:53], v[56:57]
	s_delay_alu instid0(VALU_DEP_4) | instskip(SKIP_1) | instid1(VALU_DEP_3)
	v_fma_f64 v[107:108], v[105:106], s[26:27], v[201:202]
	v_fma_f64 v[8:9], v[105:106], s[26:27], -v[201:202]
	v_fma_f64 v[10:11], v[113:114], s[38:39], -v[219:220]
	s_delay_alu instid0(VALU_DEP_3) | instskip(SKIP_1) | instid1(VALU_DEP_4)
	v_add_f64 v[2:3], v[107:108], v[2:3]
	v_add_f64 v[107:108], v[173:174], -v[60:61]
	v_add_f64 v[6:7], v[8:9], v[6:7]
	s_delay_alu instid0(VALU_DEP_2) | instskip(SKIP_1) | instid1(VALU_DEP_2)
	v_fma_f64 v[109:110], v[107:108], s[34:35], v[205:206]
	v_fma_f64 v[8:9], v[107:108], s[50:51], v[205:206]
	v_add_f64 v[0:1], v[109:110], v[0:1]
	v_add_f64 v[109:110], v[173:174], v[60:61]
	v_dual_mov_b32 v60, v173 :: v_dual_mov_b32 v61, v174
	v_add_f64 v[207:208], v[58:59], -v[62:63]
	v_add_f64 v[4:5], v[8:9], v[4:5]
	v_mul_f64 v[173:174], v[191:192], s[18:19]
	s_delay_alu instid0(VALU_DEP_3) | instskip(SKIP_3) | instid1(VALU_DEP_4)
	v_mul_f64 v[209:210], v[207:208], s[50:51]
	v_mul_f64 v[225:226], v[207:208], s[10:11]
	v_mul_f64 v[249:250], v[207:208], s[36:37]
	v_mul_f64 v[26:27], v[207:208], s[52:53]
	v_fma_f64 v[8:9], v[109:110], s[28:29], -v[209:210]
	v_fma_f64 v[111:112], v[109:110], s[28:29], v[209:210]
	s_delay_alu instid0(VALU_DEP_2) | instskip(NEXT) | instid1(VALU_DEP_2)
	v_add_f64 v[8:9], v[8:9], v[6:7]
	v_add_f64 v[211:212], v[111:112], v[2:3]
	v_add_f64 v[111:112], v[52:53], -v[56:57]
	s_delay_alu instid0(VALU_DEP_3)
	v_add_f64 v[79:80], v[10:11], v[8:9]
	v_fma_f64 v[10:11], v[89:90], s[26:27], v[133:134]
	v_fma_f64 v[8:9], v[87:88], s[48:49], v[127:128]
	;; [unrolled: 1-line block ×3, first 2 shown]
	v_fma_f64 v[133:134], v[89:90], s[26:27], -v[133:134]
	v_fma_f64 v[2:3], v[111:112], s[52:53], v[215:216]
	v_fma_f64 v[6:7], v[111:112], s[40:41], v[215:216]
	v_mul_f64 v[215:216], v[213:214], s[28:29]
	v_add_f64 v[10:11], v[10:11], v[129:130]
	v_mul_f64 v[129:130], v[123:124], s[38:39]
	v_add_f64 v[8:9], v[8:9], v[143:144]
	v_add_f64 v[127:128], v[127:128], v[145:146]
	;; [unrolled: 1-line block ×4, first 2 shown]
	v_fma_f64 v[0:1], v[113:114], s[38:39], v[219:220]
	v_mul_f64 v[219:220], v[217:218], s[50:51]
	v_fma_f64 v[2:3], v[87:88], s[42:43], v[34:35]
	v_add_f64 v[81:82], v[6:7], v[4:5]
	v_fma_f64 v[6:7], v[103:104], s[10:11], v[32:33]
	v_mul_f64 v[4:5], v[203:204], s[16:17]
	v_fma_f64 v[135:136], v[91:92], s[40:41], v[129:130]
	v_fma_f64 v[129:130], v[91:92], s[52:53], v[129:130]
	v_add_f64 v[64:65], v[0:1], v[211:212]
	v_mul_f64 v[0:1], v[213:214], s[18:19]
	v_add_f64 v[2:3], v[2:3], v[175:176]
	v_mul_f64 v[175:176], v[121:122], s[42:43]
	;; [unrolled: 2-line block ×3, first 2 shown]
	v_add_f64 v[127:128], v[129:130], v[127:128]
	s_delay_alu instid0(VALU_DEP_2) | instskip(SKIP_2) | instid1(VALU_DEP_3)
	v_fma_f64 v[137:138], v[93:94], s[38:39], v[135:136]
	v_fma_f64 v[129:130], v[93:94], s[38:39], -v[135:136]
	v_fma_f64 v[135:136], v[113:114], s[28:29], -v[219:220]
	v_add_f64 v[10:11], v[137:138], v[10:11]
	v_mul_f64 v[137:138], v[187:188], s[16:17]
	s_delay_alu instid0(VALU_DEP_4) | instskip(NEXT) | instid1(VALU_DEP_2)
	v_add_f64 v[129:130], v[129:130], v[133:134]
	v_fma_f64 v[139:140], v[95:96], s[42:43], v[137:138]
	v_fma_f64 v[133:134], v[95:96], s[20:21], v[137:138]
	v_mul_f64 v[137:138], v[121:122], s[34:35]
	s_delay_alu instid0(VALU_DEP_3) | instskip(SKIP_1) | instid1(VALU_DEP_4)
	v_add_f64 v[8:9], v[139:140], v[8:9]
	v_mul_f64 v[139:140], v[189:190], s[20:21]
	v_add_f64 v[127:128], v[133:134], v[127:128]
	s_delay_alu instid0(VALU_DEP_2) | instskip(SKIP_3) | instid1(VALU_DEP_4)
	v_fma_f64 v[141:142], v[97:98], s[16:17], v[139:140]
	v_fma_f64 v[133:134], v[97:98], s[16:17], -v[139:140]
	v_fma_f64 v[139:140], v[89:90], s[28:29], -v[137:138]
	v_fma_f64 v[137:138], v[89:90], s[28:29], v[137:138]
	v_add_f64 v[10:11], v[141:142], v[10:11]
	v_mul_f64 v[141:142], v[191:192], s[8:9]
	v_add_f64 v[129:130], v[133:134], v[129:130]
	v_add_f64 v[131:132], v[139:140], v[131:132]
	v_mul_f64 v[139:140], v[123:124], s[8:9]
	v_add_f64 v[137:138], v[137:138], v[153:154]
	v_fma_f64 v[143:144], v[99:100], s[46:47], v[141:142]
	v_fma_f64 v[133:134], v[99:100], s[10:11], v[141:142]
	s_delay_alu instid0(VALU_DEP_4) | instskip(SKIP_1) | instid1(VALU_DEP_4)
	v_fma_f64 v[141:142], v[91:92], s[10:11], v[139:140]
	v_fma_f64 v[139:140], v[91:92], s[46:47], v[139:140]
	v_add_f64 v[8:9], v[143:144], v[8:9]
	v_mul_f64 v[143:144], v[193:194], s[10:11]
	v_add_f64 v[127:128], v[133:134], v[127:128]
	s_delay_alu instid0(VALU_DEP_2) | instskip(SKIP_1) | instid1(VALU_DEP_2)
	v_fma_f64 v[197:198], v[101:102], s[8:9], v[143:144]
	v_fma_f64 v[133:134], v[101:102], s[8:9], -v[143:144]
	v_add_f64 v[10:11], v[197:198], v[10:11]
	v_mul_f64 v[197:198], v[195:196], s[0:1]
	s_delay_alu instid0(VALU_DEP_3) | instskip(NEXT) | instid1(VALU_DEP_2)
	v_add_f64 v[129:130], v[133:134], v[129:130]
	v_fma_f64 v[201:202], v[103:104], s[4:5], v[197:198]
	v_fma_f64 v[133:134], v[103:104], s[24:25], v[197:198]
	s_delay_alu instid0(VALU_DEP_2) | instskip(SKIP_1) | instid1(VALU_DEP_3)
	v_add_f64 v[8:9], v[201:202], v[8:9]
	v_mul_f64 v[201:202], v[199:200], s[24:25]
	v_add_f64 v[127:128], v[133:134], v[127:128]
	s_delay_alu instid0(VALU_DEP_2) | instskip(SKIP_1) | instid1(VALU_DEP_2)
	v_fma_f64 v[205:206], v[105:106], s[0:1], v[201:202]
	v_fma_f64 v[133:134], v[105:106], s[0:1], -v[201:202]
	v_add_f64 v[10:11], v[205:206], v[10:11]
	v_mul_f64 v[205:206], v[203:204], s[18:19]
	s_delay_alu instid0(VALU_DEP_3) | instskip(NEXT) | instid1(VALU_DEP_2)
	v_add_f64 v[129:130], v[133:134], v[129:130]
	v_fma_f64 v[209:210], v[107:108], s[44:45], v[205:206]
	v_fma_f64 v[133:134], v[107:108], s[22:23], v[205:206]
	s_delay_alu instid0(VALU_DEP_2) | instskip(SKIP_1) | instid1(VALU_DEP_3)
	v_add_f64 v[8:9], v[209:210], v[8:9]
	v_mul_f64 v[209:210], v[207:208], s[22:23]
	v_add_f64 v[127:128], v[133:134], v[127:128]
	s_delay_alu instid0(VALU_DEP_2) | instskip(SKIP_1) | instid1(VALU_DEP_2)
	v_fma_f64 v[133:134], v[109:110], s[18:19], -v[209:210]
	v_fma_f64 v[211:212], v[109:110], s[18:19], v[209:210]
	v_add_f64 v[133:134], v[133:134], v[129:130]
	v_fma_f64 v[129:130], v[111:112], s[50:51], v[215:216]
	s_delay_alu instid0(VALU_DEP_3) | instskip(SKIP_1) | instid1(VALU_DEP_3)
	v_add_f64 v[211:212], v[211:212], v[10:11]
	v_fma_f64 v[10:11], v[111:112], s[34:35], v[215:216]
	v_add_f64 v[129:130], v[129:130], v[127:128]
	v_add_f64 v[127:128], v[135:136], v[133:134]
	v_mul_f64 v[135:136], v[119:120], s[28:29]
	s_delay_alu instid0(VALU_DEP_4) | instskip(SKIP_2) | instid1(VALU_DEP_4)
	v_add_f64 v[48:49], v[10:11], v[8:9]
	v_fma_f64 v[8:9], v[113:114], s[28:29], v[219:220]
	v_fma_f64 v[10:11], v[107:108], s[52:53], v[28:29]
	v_fma_f64 v[133:134], v[87:88], s[34:35], v[135:136]
	v_fma_f64 v[135:136], v[87:88], s[50:51], v[135:136]
	s_delay_alu instid0(VALU_DEP_4) | instskip(SKIP_1) | instid1(VALU_DEP_4)
	v_add_f64 v[46:47], v[8:9], v[211:212]
	v_mul_f64 v[8:9], v[195:196], s[12:13]
	v_add_f64 v[133:134], v[133:134], v[149:150]
	s_delay_alu instid0(VALU_DEP_4) | instskip(SKIP_1) | instid1(VALU_DEP_3)
	v_add_f64 v[135:136], v[135:136], v[151:152]
	v_fma_f64 v[151:152], v[113:114], s[12:13], -v[22:23]
	v_add_f64 v[133:134], v[141:142], v[133:134]
	v_mul_f64 v[141:142], v[125:126], s[10:11]
	s_delay_alu instid0(VALU_DEP_4) | instskip(NEXT) | instid1(VALU_DEP_2)
	v_add_f64 v[135:136], v[139:140], v[135:136]
	v_fma_f64 v[143:144], v[93:94], s[8:9], -v[141:142]
	v_fma_f64 v[139:140], v[93:94], s[8:9], v[141:142]
	s_delay_alu instid0(VALU_DEP_2) | instskip(SKIP_1) | instid1(VALU_DEP_3)
	v_add_f64 v[131:132], v[143:144], v[131:132]
	v_mul_f64 v[143:144], v[187:188], s[12:13]
	v_add_f64 v[137:138], v[139:140], v[137:138]
	s_delay_alu instid0(VALU_DEP_2) | instskip(SKIP_1) | instid1(VALU_DEP_2)
	v_fma_f64 v[145:146], v[95:96], s[30:31], v[143:144]
	v_fma_f64 v[139:140], v[95:96], s[14:15], v[143:144]
	v_add_f64 v[133:134], v[145:146], v[133:134]
	v_mul_f64 v[145:146], v[189:190], s[30:31]
	s_delay_alu instid0(VALU_DEP_3) | instskip(NEXT) | instid1(VALU_DEP_2)
	v_add_f64 v[135:136], v[139:140], v[135:136]
	v_fma_f64 v[147:148], v[97:98], s[12:13], -v[145:146]
	v_fma_f64 v[139:140], v[97:98], s[12:13], v[145:146]
	s_delay_alu instid0(VALU_DEP_2) | instskip(SKIP_1) | instid1(VALU_DEP_3)
	v_add_f64 v[131:132], v[147:148], v[131:132]
	v_mul_f64 v[147:148], v[191:192], s[38:39]
	v_add_f64 v[137:138], v[139:140], v[137:138]
	s_delay_alu instid0(VALU_DEP_2) | instskip(SKIP_1) | instid1(VALU_DEP_2)
	v_fma_f64 v[149:150], v[99:100], s[40:41], v[147:148]
	v_fma_f64 v[139:140], v[99:100], s[52:53], v[147:148]
	v_add_f64 v[133:134], v[149:150], v[133:134]
	v_mul_f64 v[149:150], v[193:194], s[40:41]
	s_delay_alu instid0(VALU_DEP_3) | instskip(NEXT) | instid1(VALU_DEP_2)
	v_add_f64 v[135:136], v[139:140], v[135:136]
	v_fma_f64 v[197:198], v[101:102], s[38:39], -v[149:150]
	v_fma_f64 v[139:140], v[101:102], s[38:39], v[149:150]
	s_delay_alu instid0(VALU_DEP_2) | instskip(SKIP_1) | instid1(VALU_DEP_3)
	v_add_f64 v[131:132], v[197:198], v[131:132]
	v_mul_f64 v[197:198], v[195:196], s[18:19]
	v_add_f64 v[137:138], v[139:140], v[137:138]
	s_delay_alu instid0(VALU_DEP_2) | instskip(SKIP_2) | instid1(VALU_DEP_3)
	v_fma_f64 v[201:202], v[103:104], s[44:45], v[197:198]
	v_fma_f64 v[139:140], v[103:104], s[22:23], v[197:198]
	v_mul_f64 v[197:198], v[119:120], s[12:13]
	v_add_f64 v[133:134], v[201:202], v[133:134]
	v_mul_f64 v[201:202], v[199:200], s[44:45]
	s_delay_alu instid0(VALU_DEP_4) | instskip(NEXT) | instid1(VALU_DEP_2)
	v_add_f64 v[135:136], v[139:140], v[135:136]
	v_fma_f64 v[205:206], v[105:106], s[18:19], -v[201:202]
	v_fma_f64 v[139:140], v[105:106], s[18:19], v[201:202]
	v_mul_f64 v[201:202], v[125:126], s[22:23]
	s_delay_alu instid0(VALU_DEP_3) | instskip(SKIP_1) | instid1(VALU_DEP_4)
	v_add_f64 v[131:132], v[205:206], v[131:132]
	v_mul_f64 v[205:206], v[203:204], s[0:1]
	v_add_f64 v[137:138], v[139:140], v[137:138]
	s_delay_alu instid0(VALU_DEP_2) | instskip(SKIP_2) | instid1(VALU_DEP_3)
	v_fma_f64 v[209:210], v[107:108], s[24:25], v[205:206]
	v_fma_f64 v[139:140], v[107:108], s[4:5], v[205:206]
	v_mul_f64 v[205:206], v[187:188], s[26:27]
	v_add_f64 v[133:134], v[209:210], v[133:134]
	v_mul_f64 v[209:210], v[207:208], s[24:25]
	s_delay_alu instid0(VALU_DEP_4) | instskip(NEXT) | instid1(VALU_DEP_2)
	v_add_f64 v[135:136], v[139:140], v[135:136]
	v_fma_f64 v[211:212], v[109:110], s[0:1], -v[209:210]
	v_fma_f64 v[139:140], v[109:110], s[0:1], v[209:210]
	v_mul_f64 v[209:210], v[189:190], s[48:49]
	s_delay_alu instid0(VALU_DEP_3) | instskip(SKIP_1) | instid1(VALU_DEP_4)
	v_add_f64 v[131:132], v[211:212], v[131:132]
	v_mul_f64 v[211:212], v[213:214], s[26:27]
	v_add_f64 v[139:140], v[139:140], v[137:138]
	s_delay_alu instid0(VALU_DEP_2) | instskip(SKIP_2) | instid1(VALU_DEP_3)
	v_fma_f64 v[215:216], v[111:112], s[36:37], v[211:212]
	v_fma_f64 v[137:138], v[111:112], s[48:49], v[211:212]
	v_mul_f64 v[211:212], v[191:192], s[0:1]
	v_add_f64 v[133:134], v[215:216], v[133:134]
	v_mul_f64 v[215:216], v[217:218], s[36:37]
	s_delay_alu instid0(VALU_DEP_4) | instskip(NEXT) | instid1(VALU_DEP_2)
	v_add_f64 v[137:138], v[137:138], v[135:136]
	v_fma_f64 v[141:142], v[113:114], s[26:27], v[215:216]
	v_fma_f64 v[219:220], v[113:114], s[26:27], -v[215:216]
	v_mul_f64 v[215:216], v[193:194], s[24:25]
	s_delay_alu instid0(VALU_DEP_3) | instskip(SKIP_1) | instid1(VALU_DEP_4)
	v_add_f64 v[135:136], v[141:142], v[139:140]
	v_fma_f64 v[139:140], v[87:88], s[30:31], v[197:198]
	v_add_f64 v[131:132], v[219:220], v[131:132]
	v_mul_f64 v[219:220], v[195:196], s[38:39]
	s_delay_alu instid0(VALU_DEP_3) | instskip(SKIP_1) | instid1(VALU_DEP_1)
	v_add_f64 v[139:140], v[139:140], v[155:156]
	v_mul_f64 v[155:156], v[121:122], s[14:15]
	v_fma_f64 v[141:142], v[89:90], s[12:13], v[155:156]
	v_fma_f64 v[155:156], v[89:90], s[12:13], -v[155:156]
	s_delay_alu instid0(VALU_DEP_2) | instskip(SKIP_1) | instid1(VALU_DEP_3)
	v_add_f64 v[141:142], v[141:142], v[157:158]
	v_mul_f64 v[157:158], v[123:124], s[18:19]
	v_add_f64 v[155:156], v[155:156], v[161:162]
	s_delay_alu instid0(VALU_DEP_2) | instskip(SKIP_1) | instid1(VALU_DEP_2)
	v_fma_f64 v[143:144], v[91:92], s[44:45], v[157:158]
	v_fma_f64 v[157:158], v[91:92], s[22:23], v[157:158]
	v_add_f64 v[139:140], v[143:144], v[139:140]
	v_fma_f64 v[143:144], v[93:94], s[18:19], v[201:202]
	s_delay_alu instid0(VALU_DEP_1) | instskip(SKIP_1) | instid1(VALU_DEP_1)
	v_add_f64 v[141:142], v[143:144], v[141:142]
	v_fma_f64 v[143:144], v[95:96], s[36:37], v[205:206]
	v_add_f64 v[139:140], v[143:144], v[139:140]
	v_fma_f64 v[143:144], v[97:98], s[26:27], v[209:210]
	s_delay_alu instid0(VALU_DEP_1) | instskip(SKIP_1) | instid1(VALU_DEP_1)
	v_add_f64 v[141:142], v[143:144], v[141:142]
	;; [unrolled: 5-line block ×6, first 2 shown]
	v_fma_f64 v[143:144], v[87:88], s[52:53], v[231:232]
	v_add_f64 v[143:144], v[143:144], v[183:184]
	v_mul_f64 v[183:184], v[121:122], s[52:53]
	s_delay_alu instid0(VALU_DEP_1) | instskip(NEXT) | instid1(VALU_DEP_1)
	v_fma_f64 v[145:146], v[89:90], s[38:39], -v[183:184]
	v_add_f64 v[145:146], v[145:146], v[185:186]
	v_mul_f64 v[185:186], v[123:124], s[16:17]
	s_delay_alu instid0(VALU_DEP_1) | instskip(NEXT) | instid1(VALU_DEP_1)
	v_fma_f64 v[147:148], v[91:92], s[42:43], v[185:186]
	v_add_f64 v[143:144], v[147:148], v[143:144]
	v_fma_f64 v[147:148], v[93:94], s[16:17], -v[233:234]
	s_delay_alu instid0(VALU_DEP_1) | instskip(SKIP_1) | instid1(VALU_DEP_1)
	v_add_f64 v[145:146], v[147:148], v[145:146]
	v_fma_f64 v[147:148], v[95:96], s[24:25], v[235:236]
	v_add_f64 v[143:144], v[147:148], v[143:144]
	v_fma_f64 v[147:148], v[97:98], s[0:1], -v[237:238]
	s_delay_alu instid0(VALU_DEP_1) | instskip(SKIP_1) | instid1(VALU_DEP_1)
	v_add_f64 v[145:146], v[147:148], v[145:146]
	;; [unrolled: 5-line block ×6, first 2 shown]
	v_fma_f64 v[147:148], v[89:90], s[16:17], -v[175:176]
	v_add_f64 v[147:148], v[147:148], v[177:178]
	v_mul_f64 v[177:178], v[123:124], s[0:1]
	s_delay_alu instid0(VALU_DEP_1) | instskip(NEXT) | instid1(VALU_DEP_1)
	v_fma_f64 v[149:150], v[91:92], s[4:5], v[177:178]
	v_add_f64 v[2:3], v[149:150], v[2:3]
	v_fma_f64 v[149:150], v[93:94], s[0:1], -v[72:73]
	s_delay_alu instid0(VALU_DEP_1) | instskip(SKIP_1) | instid1(VALU_DEP_1)
	v_add_f64 v[147:148], v[149:150], v[147:148]
	v_fma_f64 v[149:150], v[95:96], s[34:35], v[181:182]
	v_add_f64 v[2:3], v[149:150], v[2:3]
	v_fma_f64 v[149:150], v[97:98], s[28:29], -v[179:180]
	s_delay_alu instid0(VALU_DEP_1) | instskip(SKIP_1) | instid1(VALU_DEP_1)
	v_add_f64 v[147:148], v[149:150], v[147:148]
	v_fma_f64 v[149:150], v[99:100], s[22:23], v[173:174]
	v_add_f64 v[2:3], v[149:150], v[2:3]
	v_fma_f64 v[149:150], v[101:102], s[18:19], -v[171:172]
	s_delay_alu instid0(VALU_DEP_2) | instskip(NEXT) | instid1(VALU_DEP_2)
	v_add_f64 v[2:3], v[6:7], v[2:3]
	v_add_f64 v[147:148], v[149:150], v[147:148]
	v_fma_f64 v[149:150], v[105:106], s[8:9], -v[30:31]
	v_mul_f64 v[6:7], v[199:200], s[30:31]
	s_delay_alu instid0(VALU_DEP_4) | instskip(SKIP_1) | instid1(VALU_DEP_4)
	v_add_f64 v[2:3], v[10:11], v[2:3]
	v_mul_f64 v[10:11], v[193:194], s[48:49]
	v_add_f64 v[147:148], v[149:150], v[147:148]
	v_fma_f64 v[149:150], v[109:110], s[38:39], -v[26:27]
	s_delay_alu instid0(VALU_DEP_1) | instskip(SKIP_1) | instid1(VALU_DEP_2)
	v_add_f64 v[147:148], v[149:150], v[147:148]
	v_fma_f64 v[149:150], v[111:112], s[30:31], v[24:25]
	v_add_f64 v[147:148], v[151:152], v[147:148]
	v_fma_f64 v[151:152], v[87:88], s[24:25], v[20:21]
	s_delay_alu instid0(VALU_DEP_3) | instskip(SKIP_2) | instid1(VALU_DEP_4)
	v_add_f64 v[149:150], v[149:150], v[2:3]
	v_mul_f64 v[2:3], v[207:208], s[20:21]
	v_fma_f64 v[20:21], v[87:88], s[4:5], v[20:21]
	v_add_f64 v[151:152], v[151:152], v[167:168]
	v_mul_f64 v[167:168], v[121:122], s[24:25]
	s_delay_alu instid0(VALU_DEP_3) | instskip(NEXT) | instid1(VALU_DEP_2)
	v_add_f64 v[20:21], v[20:21], v[163:164]
	v_fma_f64 v[153:154], v[89:90], s[0:1], -v[167:168]
	s_delay_alu instid0(VALU_DEP_1) | instskip(SKIP_1) | instid1(VALU_DEP_1)
	v_add_f64 v[153:154], v[153:154], v[169:170]
	v_mul_f64 v[169:170], v[123:124], s[28:29]
	v_fma_f64 v[75:76], v[91:92], s[34:35], v[169:170]
	s_delay_alu instid0(VALU_DEP_1) | instskip(SKIP_2) | instid1(VALU_DEP_2)
	v_add_f64 v[75:76], v[75:76], v[151:152]
	v_fma_f64 v[151:152], v[93:94], s[28:29], -v[18:19]
	v_fma_f64 v[18:19], v[93:94], s[28:29], v[18:19]
	v_add_f64 v[151:152], v[151:152], v[153:154]
	v_fma_f64 v[153:154], v[95:96], s[46:47], v[16:17]
	v_fma_f64 v[16:17], v[95:96], s[10:11], v[16:17]
	s_delay_alu instid0(VALU_DEP_2) | instskip(SKIP_2) | instid1(VALU_DEP_2)
	v_add_f64 v[75:76], v[153:154], v[75:76]
	v_fma_f64 v[153:154], v[97:98], s[8:9], -v[14:15]
	v_fma_f64 v[14:15], v[97:98], s[8:9], v[14:15]
	v_add_f64 v[151:152], v[153:154], v[151:152]
	v_fma_f64 v[153:154], v[99:100], s[48:49], v[12:13]
	v_fma_f64 v[12:13], v[99:100], s[36:37], v[12:13]
	s_delay_alu instid0(VALU_DEP_2) | instskip(SKIP_2) | instid1(VALU_DEP_2)
	;; [unrolled: 7-line block ×4, first 2 shown]
	v_add_f64 v[75:76], v[153:154], v[75:76]
	v_fma_f64 v[153:154], v[109:110], s[16:17], -v[2:3]
	v_fma_f64 v[2:3], v[109:110], s[16:17], v[2:3]
	v_add_f64 v[151:152], v[153:154], v[151:152]
	v_fma_f64 v[153:154], v[111:112], s[22:23], v[0:1]
	v_fma_f64 v[0:1], v[111:112], s[44:45], v[0:1]
	s_delay_alu instid0(VALU_DEP_2) | instskip(SKIP_1) | instid1(VALU_DEP_1)
	v_add_f64 v[153:154], v[153:154], v[75:76]
	v_mul_f64 v[75:76], v[217:218], s[22:23]
	v_fma_f64 v[77:78], v[113:114], s[18:19], -v[75:76]
	s_delay_alu instid0(VALU_DEP_1) | instskip(SKIP_1) | instid1(VALU_DEP_1)
	v_add_f64 v[151:152], v[77:78], v[151:152]
	v_fma_f64 v[77:78], v[87:88], s[14:15], v[197:198]
	v_add_f64 v[77:78], v[77:78], v[159:160]
	v_fma_f64 v[159:160], v[113:114], s[16:17], -v[229:230]
	s_delay_alu instid0(VALU_DEP_2) | instskip(SKIP_1) | instid1(VALU_DEP_1)
	v_add_f64 v[77:78], v[157:158], v[77:78]
	v_fma_f64 v[157:158], v[93:94], s[18:19], -v[201:202]
	v_add_f64 v[155:156], v[157:158], v[155:156]
	v_fma_f64 v[157:158], v[95:96], s[48:49], v[205:206]
	s_delay_alu instid0(VALU_DEP_1) | instskip(SKIP_1) | instid1(VALU_DEP_1)
	v_add_f64 v[77:78], v[157:158], v[77:78]
	v_fma_f64 v[157:158], v[97:98], s[26:27], -v[209:210]
	v_add_f64 v[155:156], v[157:158], v[155:156]
	v_fma_f64 v[157:158], v[99:100], s[24:25], v[211:212]
	s_delay_alu instid0(VALU_DEP_1) | instskip(SKIP_1) | instid1(VALU_DEP_1)
	;; [unrolled: 5-line block ×4, first 2 shown]
	v_add_f64 v[77:78], v[157:158], v[77:78]
	v_fma_f64 v[157:158], v[109:110], s[8:9], -v[225:226]
	v_add_f64 v[155:156], v[157:158], v[155:156]
	v_fma_f64 v[157:158], v[111:112], s[42:43], v[227:228]
	s_delay_alu instid0(VALU_DEP_2) | instskip(NEXT) | instid1(VALU_DEP_2)
	v_add_f64 v[155:156], v[159:160], v[155:156]
	v_add_f64 v[157:158], v[157:158], v[77:78]
	v_fma_f64 v[77:78], v[89:90], s[0:1], v[167:168]
	v_fma_f64 v[159:160], v[91:92], s[50:51], v[169:170]
	s_delay_alu instid0(VALU_DEP_2) | instskip(NEXT) | instid1(VALU_DEP_2)
	v_add_f64 v[77:78], v[77:78], v[165:166]
	v_add_f64 v[20:21], v[159:160], v[20:21]
	s_delay_alu instid0(VALU_DEP_2) | instskip(NEXT) | instid1(VALU_DEP_2)
	v_add_f64 v[18:19], v[18:19], v[77:78]
	v_add_f64 v[16:17], v[16:17], v[20:21]
	;; [unrolled: 3-line block ×5, first 2 shown]
	v_mul_f64 v[8:9], v[123:124], s[26:27]
	s_delay_alu instid0(VALU_DEP_3) | instskip(SKIP_1) | instid1(VALU_DEP_4)
	v_add_f64 v[2:3], v[2:3], v[6:7]
	v_fma_f64 v[6:7], v[113:114], s[18:19], v[75:76]
	v_add_f64 v[161:162], v[0:1], v[4:5]
	v_fma_f64 v[0:1], v[87:88], s[20:21], v[34:35]
	v_fma_f64 v[4:5], v[91:92], s[24:25], v[177:178]
	;; [unrolled: 1-line block ×3, first 2 shown]
	v_add_f64 v[159:160], v[6:7], v[2:3]
	v_fma_f64 v[2:3], v[89:90], s[16:17], v[175:176]
	v_add_f64 v[0:1], v[0:1], v[40:41]
	v_fma_f64 v[6:7], v[113:114], s[12:13], v[22:23]
	s_delay_alu instid0(VALU_DEP_3) | instskip(NEXT) | instid1(VALU_DEP_3)
	v_add_f64 v[2:3], v[2:3], v[42:43]
	v_add_f64 v[0:1], v[4:5], v[0:1]
	v_fma_f64 v[4:5], v[93:94], s[0:1], v[72:73]
	s_delay_alu instid0(VALU_DEP_1) | instskip(SKIP_1) | instid1(VALU_DEP_1)
	v_add_f64 v[2:3], v[4:5], v[2:3]
	v_fma_f64 v[4:5], v[95:96], s[50:51], v[181:182]
	v_add_f64 v[0:1], v[4:5], v[0:1]
	v_fma_f64 v[4:5], v[97:98], s[28:29], v[179:180]
	s_delay_alu instid0(VALU_DEP_1) | instskip(SKIP_1) | instid1(VALU_DEP_1)
	v_add_f64 v[2:3], v[4:5], v[2:3]
	v_fma_f64 v[4:5], v[99:100], s[44:45], v[173:174]
	;; [unrolled: 5-line block ×3, first 2 shown]
	v_add_f64 v[0:1], v[4:5], v[0:1]
	v_fma_f64 v[4:5], v[105:106], s[8:9], v[30:31]
	v_mul_f64 v[30:31], v[217:218], s[24:25]
	s_delay_alu instid0(VALU_DEP_2) | instskip(SKIP_1) | instid1(VALU_DEP_1)
	v_add_f64 v[2:3], v[4:5], v[2:3]
	v_fma_f64 v[4:5], v[107:108], s[40:41], v[28:29]
	v_add_f64 v[0:1], v[4:5], v[0:1]
	v_fma_f64 v[4:5], v[109:110], s[38:39], v[26:27]
	s_delay_alu instid0(VALU_DEP_1) | instskip(SKIP_1) | instid1(VALU_DEP_2)
	v_add_f64 v[2:3], v[4:5], v[2:3]
	v_fma_f64 v[4:5], v[111:112], s[14:15], v[24:25]
	v_add_f64 v[163:164], v[6:7], v[2:3]
	s_delay_alu instid0(VALU_DEP_2) | instskip(SKIP_4) | instid1(VALU_DEP_4)
	v_add_f64 v[165:166], v[4:5], v[0:1]
	v_fma_f64 v[0:1], v[87:88], s[40:41], v[231:232]
	v_fma_f64 v[2:3], v[89:90], s[38:39], v[183:184]
	;; [unrolled: 1-line block ×4, first 2 shown]
	v_add_f64 v[0:1], v[0:1], v[44:45]
	s_delay_alu instid0(VALU_DEP_4) | instskip(NEXT) | instid1(VALU_DEP_2)
	v_add_f64 v[2:3], v[2:3], v[50:51]
	v_add_f64 v[0:1], v[4:5], v[0:1]
	v_fma_f64 v[4:5], v[93:94], s[16:17], v[233:234]
	s_delay_alu instid0(VALU_DEP_1) | instskip(SKIP_1) | instid1(VALU_DEP_1)
	v_add_f64 v[2:3], v[4:5], v[2:3]
	v_fma_f64 v[4:5], v[95:96], s[4:5], v[235:236]
	v_add_f64 v[0:1], v[4:5], v[0:1]
	v_fma_f64 v[4:5], v[97:98], s[0:1], v[237:238]
	s_delay_alu instid0(VALU_DEP_1) | instskip(SKIP_1) | instid1(VALU_DEP_1)
	v_add_f64 v[2:3], v[4:5], v[2:3]
	v_fma_f64 v[4:5], v[99:100], s[30:31], v[239:240]
	;; [unrolled: 5-line block ×4, first 2 shown]
	v_add_f64 v[0:1], v[4:5], v[0:1]
	v_fma_f64 v[4:5], v[109:110], s[26:27], v[249:250]
	s_delay_alu instid0(VALU_DEP_1) | instskip(SKIP_1) | instid1(VALU_DEP_2)
	v_add_f64 v[2:3], v[4:5], v[2:3]
	v_fma_f64 v[4:5], v[111:112], s[10:11], v[251:252]
	v_add_f64 v[167:168], v[6:7], v[2:3]
	s_delay_alu instid0(VALU_DEP_2) | instskip(SKIP_2) | instid1(VALU_DEP_2)
	v_add_f64 v[169:170], v[4:5], v[0:1]
	v_mul_f64 v[0:1], v[119:120], s[18:19]
	v_mul_f64 v[4:5], v[121:122], s[44:45]
	v_fma_f64 v[2:3], v[87:88], s[44:45], v[0:1]
	s_delay_alu instid0(VALU_DEP_2) | instskip(SKIP_1) | instid1(VALU_DEP_3)
	v_fma_f64 v[6:7], v[89:90], s[18:19], -v[4:5]
	v_fma_f64 v[0:1], v[87:88], s[22:23], v[0:1]
	v_add_f64 v[2:3], v[2:3], v[117:118]
	s_delay_alu instid0(VALU_DEP_3) | instskip(NEXT) | instid1(VALU_DEP_3)
	v_add_f64 v[6:7], v[6:7], v[115:116]
	v_add_f64 v[0:1], v[0:1], v[83:84]
	s_delay_alu instid0(VALU_DEP_3) | instskip(SKIP_1) | instid1(VALU_DEP_1)
	v_add_f64 v[2:3], v[10:11], v[2:3]
	v_mul_f64 v[10:11], v[125:126], s[48:49]
	v_fma_f64 v[12:13], v[93:94], s[26:27], -v[10:11]
	s_delay_alu instid0(VALU_DEP_1) | instskip(SKIP_1) | instid1(VALU_DEP_1)
	v_add_f64 v[6:7], v[12:13], v[6:7]
	v_mul_f64 v[12:13], v[187:188], s[38:39]
	v_fma_f64 v[14:15], v[95:96], s[52:53], v[12:13]
	s_delay_alu instid0(VALU_DEP_1) | instskip(SKIP_1) | instid1(VALU_DEP_1)
	v_add_f64 v[2:3], v[14:15], v[2:3]
	v_mul_f64 v[14:15], v[189:190], s[52:53]
	v_fma_f64 v[16:17], v[97:98], s[38:39], -v[14:15]
	s_delay_alu instid0(VALU_DEP_1) | instskip(SKIP_1) | instid1(VALU_DEP_1)
	v_add_f64 v[6:7], v[16:17], v[6:7]
	v_mul_f64 v[16:17], v[191:192], s[28:29]
	v_fma_f64 v[18:19], v[99:100], s[50:51], v[16:17]
	s_delay_alu instid0(VALU_DEP_1) | instskip(SKIP_1) | instid1(VALU_DEP_1)
	;; [unrolled: 8-line block ×5, first 2 shown]
	v_add_f64 v[117:118], v[32:33], v[2:3]
	v_fma_f64 v[2:3], v[113:114], s[0:1], -v[30:31]
	v_add_f64 v[115:116], v[2:3], v[6:7]
	v_fma_f64 v[2:3], v[89:90], s[18:19], v[4:5]
	v_fma_f64 v[4:5], v[91:92], s[36:37], v[8:9]
	;; [unrolled: 1-line block ×5, first 2 shown]
	v_add_f64 v[2:3], v[2:3], v[85:86]
	v_add_f64 v[0:1], v[4:5], v[0:1]
	v_fma_f64 v[4:5], v[99:100], s[34:35], v[16:17]
	s_delay_alu instid0(VALU_DEP_3) | instskip(SKIP_1) | instid1(VALU_DEP_4)
	v_add_f64 v[2:3], v[6:7], v[2:3]
	v_fma_f64 v[6:7], v[101:102], s[28:29], v[18:19]
	v_add_f64 v[0:1], v[8:9], v[0:1]
	v_fma_f64 v[8:9], v[103:104], s[20:21], v[20:21]
	s_delay_alu instid0(VALU_DEP_4) | instskip(SKIP_1) | instid1(VALU_DEP_4)
	v_add_f64 v[2:3], v[10:11], v[2:3]
	v_fma_f64 v[10:11], v[105:106], s[16:17], v[22:23]
	v_add_f64 v[0:1], v[4:5], v[0:1]
	v_fma_f64 v[4:5], v[107:108], s[14:15], v[24:25]
	s_delay_alu instid0(VALU_DEP_4) | instskip(SKIP_1) | instid1(VALU_DEP_4)
	;; [unrolled: 5-line block ×3, first 2 shown]
	v_add_f64 v[2:3], v[10:11], v[2:3]
	v_fma_f64 v[10:11], v[113:114], s[0:1], v[30:31]
	v_add_f64 v[0:1], v[4:5], v[0:1]
	s_delay_alu instid0(VALU_DEP_3) | instskip(NEXT) | instid1(VALU_DEP_2)
	v_add_f64 v[2:3], v[6:7], v[2:3]
	v_add_f64 v[85:86], v[8:9], v[0:1]
	s_delay_alu instid0(VALU_DEP_2)
	v_add_f64 v[83:84], v[10:11], v[2:3]
	s_clause 0x1
	scratch_load_b64 v[0:1], off, off offset:16
	scratch_load_b64 v[2:3], off, off offset:80
	s_waitcnt vmcnt(0)
	v_add_f64 v[0:1], v[2:3], v[0:1]
	s_clause 0x1
	scratch_load_b64 v[2:3], off, off offset:24
	scratch_load_b64 v[4:5], off, off offset:88
	s_waitcnt vmcnt(0)
	v_add_f64 v[2:3], v[4:5], v[2:3]
	scratch_load_b64 v[4:5], off, off offset:96 ; 8-byte Folded Reload
	s_waitcnt vmcnt(0)
	v_add_f64 v[0:1], v[4:5], v[0:1]
	scratch_load_b64 v[4:5], off, off offset:104 ; 8-byte Folded Reload
	;; [unrolled: 3-line block ×8, first 2 shown]
	v_add_f64 v[0:1], v[58:59], v[0:1]
	s_delay_alu instid0(VALU_DEP_1) | instskip(SKIP_1) | instid1(VALU_DEP_2)
	v_add_f64 v[0:1], v[37:38], v[0:1]
	v_mov_b32_e32 v37, v74
	v_add_f64 v[0:1], v[54:55], v[0:1]
	s_delay_alu instid0(VALU_DEP_1) | instskip(SKIP_4) | instid1(VALU_DEP_1)
	v_add_f64 v[0:1], v[62:63], v[0:1]
	s_waitcnt vmcnt(0)
	v_add_f64 v[2:3], v[4:5], v[2:3]
	scratch_load_b64 v[4:5], off, off offset:192 ; 8-byte Folded Reload
	v_add_f64 v[2:3], v[60:61], v[2:3]
	v_add_f64 v[2:3], v[52:53], v[2:3]
	s_delay_alu instid0(VALU_DEP_1) | instskip(SKIP_1) | instid1(VALU_DEP_1)
	v_add_f64 v[2:3], v[56:57], v[2:3]
	s_waitcnt vmcnt(0)
	v_add_f64 v[2:3], v[4:5], v[2:3]
	scratch_load_b64 v[4:5], off, off offset:144 ; 8-byte Folded Reload
	s_waitcnt vmcnt(0)
	v_add_f64 v[0:1], v[4:5], v[0:1]
	scratch_load_b64 v[4:5], off, off offset:152 ; 8-byte Folded Reload
	;; [unrolled: 3-line block ×10, first 2 shown]
	s_waitcnt vmcnt(0)
	v_add_f64 v[2:3], v[4:5], v[2:3]
	scratch_load_b64 v[4:5], off, off       ; 8-byte Folded Reload
	s_waitcnt vmcnt(0)
	v_add_f64 v[14:15], v[4:5], v[0:1]
	scratch_load_b64 v[0:1], off, off offset:8 ; 8-byte Folded Reload
	s_waitcnt vmcnt(0)
	v_add_f64 v[12:13], v[0:1], v[2:3]
	v_mul_lo_u32 v2, s3, v70
	v_mul_lo_u32 v3, s2, v71
	v_mad_u64_u32 v[0:1], null, s2, v70, 0
	s_delay_alu instid0(VALU_DEP_1) | instskip(NEXT) | instid1(VALU_DEP_1)
	v_add3_u32 v1, v1, v3, v2
	v_lshlrev_b64 v[0:1], 4, v[0:1]
	s_delay_alu instid0(VALU_DEP_1) | instskip(NEXT) | instid1(VALU_DEP_2)
	v_add_co_u32 v2, vcc_lo, s6, v0
	v_add_co_ci_u32_e32 v3, vcc_lo, s7, v1, vcc_lo
	v_lshlrev_b64 v[0:1], 4, v[68:69]
	s_delay_alu instid0(VALU_DEP_1) | instskip(NEXT) | instid1(VALU_DEP_2)
	v_add_co_u32 v2, vcc_lo, v2, v0
	v_add_co_ci_u32_e32 v3, vcc_lo, v3, v1, vcc_lo
	;; [unrolled: 4-line block ×3, first 2 shown]
	s_delay_alu instid0(VALU_DEP_2) | instskip(NEXT) | instid1(VALU_DEP_2)
	v_add_co_u32 v2, vcc_lo, 0x1000, v0
	v_add_co_ci_u32_e32 v3, vcc_lo, 0, v1, vcc_lo
	v_add_co_u32 v4, vcc_lo, 0x2000, v0
	v_add_co_ci_u32_e32 v5, vcc_lo, 0, v1, vcc_lo
	v_add_co_u32 v6, vcc_lo, 0x3000, v0
	s_clause 0x7
	global_store_b128 v[2:3], v[131:134], off offset:704
	global_store_b128 v[2:3], v[127:130], off offset:1504
	;; [unrolled: 1-line block ×8, first 2 shown]
	v_add_co_ci_u32_e32 v7, vcc_lo, 0, v1, vcc_lo
	s_clause 0x8
	global_store_b128 v[2:3], v[46:49], off offset:3904
	global_store_b128 v[4:5], v[135:138], off offset:608
	;; [unrolled: 1-line block ×7, first 2 shown]
	global_store_b128 v[0:1], v[12:15], off
	global_store_b128 v[6:7], v[83:86], off offset:512
.LBB0_17:
	s_endpgm
	.section	.rodata,"a",@progbits
	.p2align	6, 0x0
	.amdhsa_kernel fft_rtc_fwd_len850_factors_10_5_17_wgs_85_tpt_85_dp_op_CI_CI_unitstride_sbrr_dirReg
		.amdhsa_group_segment_fixed_size 0
		.amdhsa_private_segment_fixed_size 204
		.amdhsa_kernarg_size 104
		.amdhsa_user_sgpr_count 15
		.amdhsa_user_sgpr_dispatch_ptr 0
		.amdhsa_user_sgpr_queue_ptr 0
		.amdhsa_user_sgpr_kernarg_segment_ptr 1
		.amdhsa_user_sgpr_dispatch_id 0
		.amdhsa_user_sgpr_private_segment_size 0
		.amdhsa_wavefront_size32 1
		.amdhsa_uses_dynamic_stack 0
		.amdhsa_enable_private_segment 1
		.amdhsa_system_sgpr_workgroup_id_x 1
		.amdhsa_system_sgpr_workgroup_id_y 0
		.amdhsa_system_sgpr_workgroup_id_z 0
		.amdhsa_system_sgpr_workgroup_info 0
		.amdhsa_system_vgpr_workitem_id 0
		.amdhsa_next_free_vgpr 255
		.amdhsa_next_free_sgpr 54
		.amdhsa_reserve_vcc 1
		.amdhsa_float_round_mode_32 0
		.amdhsa_float_round_mode_16_64 0
		.amdhsa_float_denorm_mode_32 3
		.amdhsa_float_denorm_mode_16_64 3
		.amdhsa_dx10_clamp 1
		.amdhsa_ieee_mode 1
		.amdhsa_fp16_overflow 0
		.amdhsa_workgroup_processor_mode 1
		.amdhsa_memory_ordered 1
		.amdhsa_forward_progress 0
		.amdhsa_shared_vgpr_count 0
		.amdhsa_exception_fp_ieee_invalid_op 0
		.amdhsa_exception_fp_denorm_src 0
		.amdhsa_exception_fp_ieee_div_zero 0
		.amdhsa_exception_fp_ieee_overflow 0
		.amdhsa_exception_fp_ieee_underflow 0
		.amdhsa_exception_fp_ieee_inexact 0
		.amdhsa_exception_int_div_zero 0
	.end_amdhsa_kernel
	.text
.Lfunc_end0:
	.size	fft_rtc_fwd_len850_factors_10_5_17_wgs_85_tpt_85_dp_op_CI_CI_unitstride_sbrr_dirReg, .Lfunc_end0-fft_rtc_fwd_len850_factors_10_5_17_wgs_85_tpt_85_dp_op_CI_CI_unitstride_sbrr_dirReg
                                        ; -- End function
	.section	.AMDGPU.csdata,"",@progbits
; Kernel info:
; codeLenInByte = 13128
; NumSgprs: 56
; NumVgprs: 255
; ScratchSize: 204
; MemoryBound: 1
; FloatMode: 240
; IeeeMode: 1
; LDSByteSize: 0 bytes/workgroup (compile time only)
; SGPRBlocks: 6
; VGPRBlocks: 31
; NumSGPRsForWavesPerEU: 56
; NumVGPRsForWavesPerEU: 255
; Occupancy: 5
; WaveLimiterHint : 1
; COMPUTE_PGM_RSRC2:SCRATCH_EN: 1
; COMPUTE_PGM_RSRC2:USER_SGPR: 15
; COMPUTE_PGM_RSRC2:TRAP_HANDLER: 0
; COMPUTE_PGM_RSRC2:TGID_X_EN: 1
; COMPUTE_PGM_RSRC2:TGID_Y_EN: 0
; COMPUTE_PGM_RSRC2:TGID_Z_EN: 0
; COMPUTE_PGM_RSRC2:TIDIG_COMP_CNT: 0
	.text
	.p2alignl 7, 3214868480
	.fill 96, 4, 3214868480
	.type	__hip_cuid_3bbaef800266f0b7,@object ; @__hip_cuid_3bbaef800266f0b7
	.section	.bss,"aw",@nobits
	.globl	__hip_cuid_3bbaef800266f0b7
__hip_cuid_3bbaef800266f0b7:
	.byte	0                               ; 0x0
	.size	__hip_cuid_3bbaef800266f0b7, 1

	.ident	"AMD clang version 19.0.0git (https://github.com/RadeonOpenCompute/llvm-project roc-6.4.0 25133 c7fe45cf4b819c5991fe208aaa96edf142730f1d)"
	.section	".note.GNU-stack","",@progbits
	.addrsig
	.addrsig_sym __hip_cuid_3bbaef800266f0b7
	.amdgpu_metadata
---
amdhsa.kernels:
  - .args:
      - .actual_access:  read_only
        .address_space:  global
        .offset:         0
        .size:           8
        .value_kind:     global_buffer
      - .offset:         8
        .size:           8
        .value_kind:     by_value
      - .actual_access:  read_only
        .address_space:  global
        .offset:         16
        .size:           8
        .value_kind:     global_buffer
      - .actual_access:  read_only
        .address_space:  global
        .offset:         24
        .size:           8
        .value_kind:     global_buffer
      - .actual_access:  read_only
        .address_space:  global
        .offset:         32
        .size:           8
        .value_kind:     global_buffer
      - .offset:         40
        .size:           8
        .value_kind:     by_value
      - .actual_access:  read_only
        .address_space:  global
        .offset:         48
        .size:           8
        .value_kind:     global_buffer
      - .actual_access:  read_only
        .address_space:  global
        .offset:         56
        .size:           8
        .value_kind:     global_buffer
      - .offset:         64
        .size:           4
        .value_kind:     by_value
      - .actual_access:  read_only
        .address_space:  global
        .offset:         72
        .size:           8
        .value_kind:     global_buffer
      - .actual_access:  read_only
        .address_space:  global
        .offset:         80
        .size:           8
        .value_kind:     global_buffer
      - .actual_access:  read_only
        .address_space:  global
        .offset:         88
        .size:           8
        .value_kind:     global_buffer
      - .actual_access:  write_only
        .address_space:  global
        .offset:         96
        .size:           8
        .value_kind:     global_buffer
    .group_segment_fixed_size: 0
    .kernarg_segment_align: 8
    .kernarg_segment_size: 104
    .language:       OpenCL C
    .language_version:
      - 2
      - 0
    .max_flat_workgroup_size: 85
    .name:           fft_rtc_fwd_len850_factors_10_5_17_wgs_85_tpt_85_dp_op_CI_CI_unitstride_sbrr_dirReg
    .private_segment_fixed_size: 204
    .sgpr_count:     56
    .sgpr_spill_count: 0
    .symbol:         fft_rtc_fwd_len850_factors_10_5_17_wgs_85_tpt_85_dp_op_CI_CI_unitstride_sbrr_dirReg.kd
    .uniform_work_group_size: 1
    .uses_dynamic_stack: false
    .vgpr_count:     255
    .vgpr_spill_count: 50
    .wavefront_size: 32
    .workgroup_processor_mode: 1
amdhsa.target:   amdgcn-amd-amdhsa--gfx1100
amdhsa.version:
  - 1
  - 2
...

	.end_amdgpu_metadata
